;; amdgpu-corpus repo=pytorch/pytorch kind=compiled arch=gfx1100 opt=O3
	.text
	.amdgcn_target "amdgcn-amd-amdhsa--gfx1100"
	.amdhsa_code_object_version 6
	.section	.text._ZN2at6native12_GLOBAL__N_115adaptivemaxpoolIdEEvPKT_PS3_Pliiiiiilllll,"axG",@progbits,_ZN2at6native12_GLOBAL__N_115adaptivemaxpoolIdEEvPKT_PS3_Pliiiiiilllll,comdat
	.globl	_ZN2at6native12_GLOBAL__N_115adaptivemaxpoolIdEEvPKT_PS3_Pliiiiiilllll ; -- Begin function _ZN2at6native12_GLOBAL__N_115adaptivemaxpoolIdEEvPKT_PS3_Pliiiiiilllll
	.p2align	8
	.type	_ZN2at6native12_GLOBAL__N_115adaptivemaxpoolIdEEvPKT_PS3_Pliiiiiilllll,@function
_ZN2at6native12_GLOBAL__N_115adaptivemaxpoolIdEEvPKT_PS3_Pliiiiiilllll: ; @_ZN2at6native12_GLOBAL__N_115adaptivemaxpoolIdEEvPKT_PS3_Pliiiiiilllll
; %bb.0:
	s_clause 0x2
	s_load_b64 s[2:3], s[0:1], 0x50
	s_load_b128 s[16:19], s[0:1], 0x18
	s_load_b64 s[20:21], s[0:1], 0x28
	s_waitcnt lgkmcnt(0)
	s_add_u32 s24, s14, s2
	s_addc_u32 s25, 0, s3
	s_ashr_i32 s13, s19, 31
	s_mov_b32 s12, s19
	s_delay_alu instid0(SALU_CYCLE_1) | instskip(SKIP_1) | instid1(SALU_CYCLE_1)
	s_or_b64 s[2:3], s[24:25], s[12:13]
	s_mov_b32 s2, 0
	s_cmp_lg_u64 s[2:3], 0
	s_cbranch_scc0 .LBB0_51
; %bb.1:
	s_add_u32 s6, s12, s13
	s_mov_b32 s4, s13
	s_mov_b32 s5, s13
	s_addc_u32 s7, s13, s13
	s_delay_alu instid0(SALU_CYCLE_1) | instskip(NEXT) | instid1(SALU_CYCLE_1)
	s_xor_b64 s[6:7], s[6:7], s[4:5]
	v_cvt_f32_u32_e32 v1, s6
	v_cvt_f32_u32_e32 v2, s7
	s_sub_u32 s9, 0, s6
	s_subb_u32 s10, 0, s7
	s_delay_alu instid0(VALU_DEP_1) | instskip(NEXT) | instid1(VALU_DEP_1)
	v_fmamk_f32 v1, v2, 0x4f800000, v1
	v_rcp_f32_e32 v1, v1
	s_waitcnt_depctr 0xfff
	v_mul_f32_e32 v1, 0x5f7ffffc, v1
	s_delay_alu instid0(VALU_DEP_1) | instskip(NEXT) | instid1(VALU_DEP_1)
	v_mul_f32_e32 v2, 0x2f800000, v1
	v_trunc_f32_e32 v2, v2
	s_delay_alu instid0(VALU_DEP_1) | instskip(SKIP_1) | instid1(VALU_DEP_2)
	v_fmamk_f32 v1, v2, 0xcf800000, v1
	v_cvt_u32_f32_e32 v2, v2
	v_cvt_u32_f32_e32 v1, v1
	s_delay_alu instid0(VALU_DEP_2) | instskip(NEXT) | instid1(VALU_DEP_2)
	v_readfirstlane_b32 s3, v2
	v_readfirstlane_b32 s8, v1
	s_delay_alu instid0(VALU_DEP_2) | instskip(NEXT) | instid1(VALU_DEP_1)
	s_mul_i32 s11, s9, s3
	s_mul_hi_u32 s19, s9, s8
	s_mul_i32 s14, s10, s8
	s_add_i32 s11, s19, s11
	s_mul_i32 s22, s9, s8
	s_add_i32 s11, s11, s14
	s_mul_hi_u32 s19, s8, s22
	s_mul_hi_u32 s23, s3, s22
	s_mul_i32 s14, s3, s22
	s_mul_hi_u32 s22, s8, s11
	s_mul_i32 s8, s8, s11
	s_mul_hi_u32 s26, s3, s11
	s_add_u32 s8, s19, s8
	s_addc_u32 s19, 0, s22
	s_add_u32 s8, s8, s14
	s_mul_i32 s11, s3, s11
	s_addc_u32 s8, s19, s23
	s_addc_u32 s14, s26, 0
	s_add_u32 s8, s8, s11
	s_addc_u32 s11, 0, s14
	v_add_co_u32 v1, s8, v1, s8
	s_delay_alu instid0(VALU_DEP_1) | instskip(SKIP_1) | instid1(VALU_DEP_1)
	s_cmp_lg_u32 s8, 0
	s_addc_u32 s3, s3, s11
	v_readfirstlane_b32 s8, v1
	s_mul_i32 s11, s9, s3
	s_delay_alu instid0(VALU_DEP_1)
	s_mul_hi_u32 s14, s9, s8
	s_mul_i32 s10, s10, s8
	s_add_i32 s11, s14, s11
	s_mul_i32 s9, s9, s8
	s_add_i32 s11, s11, s10
	s_mul_hi_u32 s14, s3, s9
	s_mul_i32 s19, s3, s9
	s_mul_hi_u32 s9, s8, s9
	s_mul_hi_u32 s22, s8, s11
	s_mul_i32 s8, s8, s11
	s_mul_hi_u32 s10, s3, s11
	s_add_u32 s8, s9, s8
	s_addc_u32 s9, 0, s22
	s_add_u32 s8, s8, s19
	s_mul_i32 s11, s3, s11
	s_addc_u32 s8, s9, s14
	s_addc_u32 s9, s10, 0
	s_add_u32 s8, s8, s11
	s_addc_u32 s9, 0, s9
	v_add_co_u32 v1, s8, v1, s8
	s_delay_alu instid0(VALU_DEP_1) | instskip(SKIP_2) | instid1(VALU_DEP_1)
	s_cmp_lg_u32 s8, 0
	s_addc_u32 s3, s3, s9
	s_ashr_i32 s8, s25, 31
	v_readfirstlane_b32 s14, v1
	s_add_u32 s10, s24, s8
	s_mov_b32 s9, s8
	s_addc_u32 s11, s25, s8
	s_delay_alu instid0(SALU_CYCLE_1) | instskip(NEXT) | instid1(SALU_CYCLE_1)
	s_xor_b64 s[10:11], s[10:11], s[8:9]
	s_mul_i32 s22, s10, s3
	s_mul_hi_u32 s23, s10, s14
	s_mul_hi_u32 s19, s10, s3
	s_mul_hi_u32 s27, s11, s14
	s_mul_i32 s14, s11, s14
	s_add_u32 s22, s23, s22
	s_addc_u32 s19, 0, s19
	s_mul_hi_u32 s26, s11, s3
	s_add_u32 s14, s22, s14
	s_mul_i32 s3, s11, s3
	s_addc_u32 s14, s19, s27
	s_addc_u32 s19, s26, 0
	s_add_u32 s3, s14, s3
	s_addc_u32 s14, 0, s19
	s_mul_i32 s26, s6, s3
	s_mul_hi_u32 s19, s6, s3
	s_mul_i32 s23, s6, s14
	v_sub_co_u32 v1, s10, s10, s26
	s_mul_i32 s22, s7, s3
	s_add_i32 s19, s19, s23
	s_delay_alu instid0(SALU_CYCLE_1) | instskip(NEXT) | instid1(VALU_DEP_1)
	s_add_i32 s19, s19, s22
	v_sub_co_u32 v2, s23, v1, s6
	s_sub_i32 s22, s11, s19
	s_cmp_lg_u32 s10, 0
	s_subb_u32 s22, s22, s7
	s_cmp_lg_u32 s23, 0
	v_readfirstlane_b32 s23, v2
	s_subb_u32 s22, s22, 0
	s_delay_alu instid0(SALU_CYCLE_1) | instskip(SKIP_1) | instid1(VALU_DEP_1)
	s_cmp_ge_u32 s22, s7
	s_cselect_b32 s26, -1, 0
	s_cmp_ge_u32 s23, s6
	s_cselect_b32 s23, -1, 0
	s_cmp_eq_u32 s22, s7
	s_cselect_b32 s22, s23, s26
	s_add_u32 s23, s3, 1
	s_addc_u32 s26, s14, 0
	s_add_u32 s27, s3, 2
	s_addc_u32 s28, s14, 0
	s_cmp_lg_u32 s22, 0
	s_cselect_b32 s22, s27, s23
	s_cselect_b32 s23, s28, s26
	s_cmp_lg_u32 s10, 0
	v_readfirstlane_b32 s10, v1
	s_subb_u32 s11, s11, s19
	s_delay_alu instid0(SALU_CYCLE_1) | instskip(SKIP_1) | instid1(VALU_DEP_1)
	s_cmp_ge_u32 s11, s7
	s_cselect_b32 s19, -1, 0
	s_cmp_ge_u32 s10, s6
	s_cselect_b32 s6, -1, 0
	s_cmp_eq_u32 s11, s7
	s_cselect_b32 s6, s6, s19
	s_delay_alu instid0(SALU_CYCLE_1) | instskip(SKIP_3) | instid1(SALU_CYCLE_1)
	s_cmp_lg_u32 s6, 0
	s_cselect_b32 s7, s23, s14
	s_cselect_b32 s6, s22, s3
	s_xor_b64 s[4:5], s[8:9], s[4:5]
	s_xor_b64 s[6:7], s[6:7], s[4:5]
	s_delay_alu instid0(SALU_CYCLE_1)
	s_sub_u32 s26, s6, s4
	s_subb_u32 s27, s7, s5
	s_and_not1_b32 vcc_lo, exec_lo, s2
	s_cbranch_vccnz .LBB0_3
.LBB0_2:
	v_cvt_f32_u32_e32 v1, s12
	s_sub_i32 s3, 0, s12
	s_mov_b32 s27, 0
	s_delay_alu instid0(VALU_DEP_1) | instskip(SKIP_2) | instid1(VALU_DEP_1)
	v_rcp_iflag_f32_e32 v1, v1
	s_waitcnt_depctr 0xfff
	v_mul_f32_e32 v1, 0x4f7ffffe, v1
	v_cvt_u32_f32_e32 v1, v1
	s_delay_alu instid0(VALU_DEP_1) | instskip(NEXT) | instid1(VALU_DEP_1)
	v_readfirstlane_b32 s2, v1
	s_mul_i32 s3, s3, s2
	s_delay_alu instid0(SALU_CYCLE_1) | instskip(NEXT) | instid1(SALU_CYCLE_1)
	s_mul_hi_u32 s3, s2, s3
	s_add_i32 s2, s2, s3
	s_delay_alu instid0(SALU_CYCLE_1) | instskip(NEXT) | instid1(SALU_CYCLE_1)
	s_mul_hi_u32 s2, s24, s2
	s_mul_i32 s3, s2, s12
	s_add_i32 s4, s2, 1
	s_sub_i32 s3, s24, s3
	s_delay_alu instid0(SALU_CYCLE_1)
	s_sub_i32 s5, s3, s12
	s_cmp_ge_u32 s3, s12
	s_cselect_b32 s2, s4, s2
	s_cselect_b32 s3, s5, s3
	s_add_i32 s4, s2, 1
	s_cmp_ge_u32 s3, s12
	s_cselect_b32 s26, s4, s2
.LBB0_3:
	s_delay_alu instid0(SALU_CYCLE_1) | instskip(SKIP_4) | instid1(SALU_CYCLE_1)
	s_mul_i32 s2, s26, s13
	s_mul_hi_u32 s3, s26, s12
	s_mul_i32 s4, s26, s12
	s_add_i32 s2, s3, s2
	s_mul_i32 s3, s27, s12
	s_add_i32 s2, s2, s3
	s_sub_u32 s4, s24, s4
	s_subb_u32 s2, s25, s2
	s_ashr_i32 s14, s16, 31
	s_mul_hi_u32 s5, s4, s16
	s_mul_i32 s3, s4, s14
	s_mul_i32 s2, s2, s16
	s_add_i32 s3, s5, s3
	s_delay_alu instid0(SALU_CYCLE_1) | instskip(SKIP_1) | instid1(SALU_CYCLE_1)
	s_add_i32 s3, s3, s2
	s_mul_i32 s2, s4, s16
	s_or_b64 s[4:5], s[2:3], s[12:13]
	s_mov_b32 s4, 0
	s_delay_alu instid0(SALU_CYCLE_1)
	s_cmp_lg_u64 s[4:5], 0
	s_cbranch_scc0 .LBB0_52
; %bb.4:
	s_add_u32 s8, s12, s13
	s_mov_b32 s6, s13
	s_mov_b32 s7, s13
	s_addc_u32 s9, s13, s13
	s_delay_alu instid0(SALU_CYCLE_1) | instskip(NEXT) | instid1(SALU_CYCLE_1)
	s_xor_b64 s[8:9], s[8:9], s[6:7]
	v_cvt_f32_u32_e32 v1, s8
	v_cvt_f32_u32_e32 v2, s9
	s_sub_u32 s11, 0, s8
	s_subb_u32 s19, 0, s9
	s_delay_alu instid0(VALU_DEP_1) | instskip(NEXT) | instid1(VALU_DEP_1)
	v_fmamk_f32 v1, v2, 0x4f800000, v1
	v_rcp_f32_e32 v1, v1
	s_waitcnt_depctr 0xfff
	v_mul_f32_e32 v1, 0x5f7ffffc, v1
	s_delay_alu instid0(VALU_DEP_1) | instskip(NEXT) | instid1(VALU_DEP_1)
	v_mul_f32_e32 v2, 0x2f800000, v1
	v_trunc_f32_e32 v2, v2
	s_delay_alu instid0(VALU_DEP_1) | instskip(SKIP_1) | instid1(VALU_DEP_2)
	v_fmamk_f32 v1, v2, 0xcf800000, v1
	v_cvt_u32_f32_e32 v2, v2
	v_cvt_u32_f32_e32 v1, v1
	s_delay_alu instid0(VALU_DEP_2) | instskip(NEXT) | instid1(VALU_DEP_2)
	v_readfirstlane_b32 s5, v2
	v_readfirstlane_b32 s10, v1
	s_delay_alu instid0(VALU_DEP_2) | instskip(NEXT) | instid1(VALU_DEP_1)
	s_mul_i32 s22, s11, s5
	s_mul_hi_u32 s28, s11, s10
	s_mul_i32 s23, s19, s10
	s_add_i32 s22, s28, s22
	s_mul_i32 s29, s11, s10
	s_add_i32 s22, s22, s23
	s_mul_hi_u32 s28, s10, s29
	s_mul_hi_u32 s30, s5, s29
	s_mul_i32 s23, s5, s29
	s_mul_hi_u32 s29, s10, s22
	s_mul_i32 s10, s10, s22
	s_mul_hi_u32 s31, s5, s22
	s_add_u32 s10, s28, s10
	s_addc_u32 s28, 0, s29
	s_add_u32 s10, s10, s23
	s_mul_i32 s22, s5, s22
	s_addc_u32 s10, s28, s30
	s_addc_u32 s23, s31, 0
	s_add_u32 s10, s10, s22
	s_addc_u32 s22, 0, s23
	v_add_co_u32 v1, s10, v1, s10
	s_delay_alu instid0(VALU_DEP_1) | instskip(SKIP_1) | instid1(VALU_DEP_1)
	s_cmp_lg_u32 s10, 0
	s_addc_u32 s5, s5, s22
	v_readfirstlane_b32 s10, v1
	s_mul_i32 s22, s11, s5
	s_delay_alu instid0(VALU_DEP_1)
	s_mul_hi_u32 s23, s11, s10
	s_mul_i32 s19, s19, s10
	s_add_i32 s22, s23, s22
	s_mul_i32 s11, s11, s10
	s_add_i32 s22, s22, s19
	s_mul_hi_u32 s23, s5, s11
	s_mul_i32 s28, s5, s11
	s_mul_hi_u32 s11, s10, s11
	s_mul_hi_u32 s29, s10, s22
	s_mul_i32 s10, s10, s22
	s_mul_hi_u32 s19, s5, s22
	s_add_u32 s10, s11, s10
	s_addc_u32 s11, 0, s29
	s_add_u32 s10, s10, s28
	s_mul_i32 s22, s5, s22
	s_addc_u32 s10, s11, s23
	s_addc_u32 s11, s19, 0
	s_add_u32 s10, s10, s22
	s_addc_u32 s11, 0, s11
	v_add_co_u32 v1, s10, v1, s10
	s_delay_alu instid0(VALU_DEP_1) | instskip(SKIP_2) | instid1(VALU_DEP_1)
	s_cmp_lg_u32 s10, 0
	s_addc_u32 s5, s5, s11
	s_ashr_i32 s10, s3, 31
	v_readfirstlane_b32 s19, v1
	s_add_u32 s22, s2, s10
	s_mov_b32 s11, s10
	s_addc_u32 s23, s3, s10
	s_delay_alu instid0(SALU_CYCLE_1) | instskip(NEXT) | instid1(SALU_CYCLE_1)
	s_xor_b64 s[22:23], s[22:23], s[10:11]
	s_mul_i32 s29, s22, s5
	s_mul_hi_u32 s30, s22, s19
	s_mul_hi_u32 s28, s22, s5
	;; [unrolled: 1-line block ×3, first 2 shown]
	s_mul_i32 s19, s23, s19
	s_add_u32 s29, s30, s29
	s_addc_u32 s28, 0, s28
	s_mul_hi_u32 s31, s23, s5
	s_add_u32 s19, s29, s19
	s_mul_i32 s5, s23, s5
	s_addc_u32 s19, s28, s33
	s_addc_u32 s28, s31, 0
	s_add_u32 s5, s19, s5
	s_addc_u32 s19, 0, s28
	s_mul_i32 s31, s8, s5
	s_mul_hi_u32 s28, s8, s5
	s_mul_i32 s30, s8, s19
	v_sub_co_u32 v1, s22, s22, s31
	s_mul_i32 s29, s9, s5
	s_add_i32 s28, s28, s30
	s_delay_alu instid0(SALU_CYCLE_1) | instskip(NEXT) | instid1(VALU_DEP_1)
	s_add_i32 s28, s28, s29
	v_sub_co_u32 v2, s30, v1, s8
	s_sub_i32 s29, s23, s28
	s_cmp_lg_u32 s22, 0
	s_subb_u32 s29, s29, s9
	s_cmp_lg_u32 s30, 0
	v_readfirstlane_b32 s30, v2
	s_subb_u32 s29, s29, 0
	s_delay_alu instid0(SALU_CYCLE_1) | instskip(SKIP_1) | instid1(VALU_DEP_1)
	s_cmp_ge_u32 s29, s9
	s_cselect_b32 s31, -1, 0
	s_cmp_ge_u32 s30, s8
	s_cselect_b32 s30, -1, 0
	s_cmp_eq_u32 s29, s9
	s_cselect_b32 s29, s30, s31
	s_add_u32 s30, s5, 1
	s_addc_u32 s31, s19, 0
	s_add_u32 s33, s5, 2
	s_addc_u32 s34, s19, 0
	s_cmp_lg_u32 s29, 0
	s_cselect_b32 s29, s33, s30
	s_cselect_b32 s30, s34, s31
	s_cmp_lg_u32 s22, 0
	v_readfirstlane_b32 s22, v1
	s_subb_u32 s23, s23, s28
	s_delay_alu instid0(SALU_CYCLE_1) | instskip(SKIP_1) | instid1(VALU_DEP_1)
	s_cmp_ge_u32 s23, s9
	s_cselect_b32 s28, -1, 0
	s_cmp_ge_u32 s22, s8
	s_cselect_b32 s8, -1, 0
	s_cmp_eq_u32 s23, s9
	s_cselect_b32 s8, s8, s28
	s_delay_alu instid0(SALU_CYCLE_1) | instskip(SKIP_3) | instid1(SALU_CYCLE_1)
	s_cmp_lg_u32 s8, 0
	s_cselect_b32 s9, s30, s19
	s_cselect_b32 s8, s29, s5
	s_xor_b64 s[6:7], s[10:11], s[6:7]
	s_xor_b64 s[8:9], s[8:9], s[6:7]
	s_delay_alu instid0(SALU_CYCLE_1)
	s_sub_u32 s22, s8, s6
	s_subb_u32 s23, s9, s7
	s_load_b32 s33, s[0:1], 0x64
	s_and_not1_b32 vcc_lo, exec_lo, s4
	s_cbranch_vccnz .LBB0_6
.LBB0_5:
	v_cvt_f32_u32_e32 v1, s12
	s_sub_i32 s5, 0, s12
	s_mov_b32 s23, 0
	s_delay_alu instid0(VALU_DEP_1) | instskip(SKIP_2) | instid1(VALU_DEP_1)
	v_rcp_iflag_f32_e32 v1, v1
	s_waitcnt_depctr 0xfff
	v_mul_f32_e32 v1, 0x4f7ffffe, v1
	v_cvt_u32_f32_e32 v1, v1
	s_delay_alu instid0(VALU_DEP_1) | instskip(NEXT) | instid1(VALU_DEP_1)
	v_readfirstlane_b32 s4, v1
	s_mul_i32 s5, s5, s4
	s_delay_alu instid0(SALU_CYCLE_1) | instskip(NEXT) | instid1(SALU_CYCLE_1)
	s_mul_hi_u32 s5, s4, s5
	s_add_i32 s4, s4, s5
	s_delay_alu instid0(SALU_CYCLE_1) | instskip(NEXT) | instid1(SALU_CYCLE_1)
	s_mul_hi_u32 s4, s2, s4
	s_mul_i32 s5, s4, s12
	s_add_i32 s6, s4, 1
	s_sub_i32 s5, s2, s5
	s_delay_alu instid0(SALU_CYCLE_1)
	s_sub_i32 s7, s5, s12
	s_cmp_ge_u32 s5, s12
	s_cselect_b32 s4, s6, s4
	s_cselect_b32 s5, s7, s5
	s_add_i32 s6, s4, 1
	s_cmp_ge_u32 s5, s12
	s_cselect_b32 s22, s6, s4
.LBB0_6:
	v_bfe_u32 v3, v0, 10, 10
	s_waitcnt lgkmcnt(0)
	s_lshr_b32 s35, s33, 16
	s_mov_b32 s4, exec_lo
	s_delay_alu instid0(VALU_DEP_1) | instskip(NEXT) | instid1(VALU_DEP_1)
	v_mad_u64_u32 v[1:2], null, s15, s35, v[3:4]
	v_cmpx_gt_i32_e64 s20, v1
	s_cbranch_execz .LBB0_50
; %bb.7:
	s_load_b256 s[4:11], s[0:1], 0x30
	s_add_u32 s2, s2, s16
	s_addc_u32 s3, s3, s14
	s_add_u32 s14, s2, -1
	s_addc_u32 s15, s3, -1
	s_delay_alu instid0(SALU_CYCLE_1) | instskip(SKIP_1) | instid1(SALU_CYCLE_1)
	s_or_b64 s[28:29], s[14:15], s[12:13]
	s_mov_b32 s28, 0
	s_cmp_lg_u64 s[28:29], 0
	s_cbranch_scc0 .LBB0_53
; %bb.8:
	s_add_u32 s2, s12, s13
	s_mov_b32 s30, s13
	s_mov_b32 s31, s13
	s_addc_u32 s3, s13, s13
	s_delay_alu instid0(SALU_CYCLE_1) | instskip(NEXT) | instid1(SALU_CYCLE_1)
	s_xor_b64 s[2:3], s[2:3], s[30:31]
	v_cvt_f32_u32_e32 v2, s2
	v_cvt_f32_u32_e32 v3, s3
	s_sub_u32 s19, 0, s2
	s_subb_u32 s29, 0, s3
	s_delay_alu instid0(VALU_DEP_1) | instskip(NEXT) | instid1(VALU_DEP_1)
	v_fmamk_f32 v2, v3, 0x4f800000, v2
	v_rcp_f32_e32 v2, v2
	s_waitcnt_depctr 0xfff
	v_mul_f32_e32 v2, 0x5f7ffffc, v2
	s_delay_alu instid0(VALU_DEP_1) | instskip(NEXT) | instid1(VALU_DEP_1)
	v_mul_f32_e32 v3, 0x2f800000, v2
	v_trunc_f32_e32 v3, v3
	s_delay_alu instid0(VALU_DEP_1) | instskip(SKIP_1) | instid1(VALU_DEP_2)
	v_fmamk_f32 v2, v3, 0xcf800000, v2
	v_cvt_u32_f32_e32 v3, v3
	v_cvt_u32_f32_e32 v2, v2
	s_delay_alu instid0(VALU_DEP_2) | instskip(NEXT) | instid1(VALU_DEP_2)
	v_readfirstlane_b32 s13, v3
	v_readfirstlane_b32 s16, v2
	s_delay_alu instid0(VALU_DEP_2) | instskip(NEXT) | instid1(VALU_DEP_1)
	s_mul_i32 s34, s19, s13
	s_mul_hi_u32 s37, s19, s16
	s_mul_i32 s36, s29, s16
	s_add_i32 s34, s37, s34
	s_mul_i32 s38, s19, s16
	s_add_i32 s34, s34, s36
	s_mul_hi_u32 s37, s16, s38
	s_mul_hi_u32 s39, s13, s38
	s_mul_i32 s36, s13, s38
	s_mul_hi_u32 s38, s16, s34
	s_mul_i32 s16, s16, s34
	s_mul_hi_u32 s40, s13, s34
	s_add_u32 s16, s37, s16
	s_addc_u32 s37, 0, s38
	s_add_u32 s16, s16, s36
	s_mul_i32 s34, s13, s34
	s_addc_u32 s16, s37, s39
	s_addc_u32 s36, s40, 0
	s_add_u32 s16, s16, s34
	s_addc_u32 s34, 0, s36
	v_add_co_u32 v2, s16, v2, s16
	s_delay_alu instid0(VALU_DEP_1) | instskip(SKIP_1) | instid1(VALU_DEP_1)
	s_cmp_lg_u32 s16, 0
	s_addc_u32 s13, s13, s34
	v_readfirstlane_b32 s16, v2
	s_mul_i32 s34, s19, s13
	s_delay_alu instid0(VALU_DEP_1)
	s_mul_hi_u32 s36, s19, s16
	s_mul_i32 s29, s29, s16
	s_add_i32 s34, s36, s34
	s_mul_i32 s19, s19, s16
	s_add_i32 s34, s34, s29
	s_mul_hi_u32 s36, s13, s19
	s_mul_i32 s37, s13, s19
	s_mul_hi_u32 s19, s16, s19
	s_mul_hi_u32 s38, s16, s34
	s_mul_i32 s16, s16, s34
	s_mul_hi_u32 s29, s13, s34
	s_add_u32 s16, s19, s16
	s_addc_u32 s19, 0, s38
	s_add_u32 s16, s16, s37
	s_mul_i32 s34, s13, s34
	s_addc_u32 s16, s19, s36
	s_addc_u32 s19, s29, 0
	s_add_u32 s16, s16, s34
	s_addc_u32 s19, 0, s19
	v_add_co_u32 v2, s16, v2, s16
	s_delay_alu instid0(VALU_DEP_1) | instskip(SKIP_2) | instid1(SALU_CYCLE_1)
	s_cmp_lg_u32 s16, 0
	s_addc_u32 s13, s13, s19
	s_ashr_i32 s36, s15, 31
	s_add_u32 s38, s14, s36
	s_addc_u32 s39, s15, s36
	v_readfirstlane_b32 s15, v2
	s_mov_b32 s37, s36
	s_delay_alu instid0(SALU_CYCLE_1) | instskip(NEXT) | instid1(SALU_CYCLE_1)
	s_xor_b64 s[38:39], s[38:39], s[36:37]
	s_mul_i32 s19, s38, s13
	s_delay_alu instid0(VALU_DEP_1)
	s_mul_hi_u32 s29, s38, s15
	s_mul_hi_u32 s16, s38, s13
	s_mul_hi_u32 s40, s39, s15
	s_mul_i32 s15, s39, s15
	s_add_u32 s19, s29, s19
	s_addc_u32 s16, 0, s16
	s_mul_hi_u32 s34, s39, s13
	s_add_u32 s15, s19, s15
	s_mul_i32 s13, s39, s13
	s_addc_u32 s15, s16, s40
	s_addc_u32 s16, s34, 0
	s_add_u32 s13, s15, s13
	s_addc_u32 s15, 0, s16
	s_mul_hi_u32 s16, s2, s13
	s_mul_i32 s15, s2, s15
	s_mul_i32 s29, s2, s13
	;; [unrolled: 1-line block ×3, first 2 shown]
	s_add_i32 s15, s16, s15
	v_sub_co_u32 v2, s16, s38, s29
	s_add_i32 s15, s15, s19
	s_delay_alu instid0(SALU_CYCLE_1) | instskip(SKIP_1) | instid1(VALU_DEP_1)
	s_sub_i32 s19, s39, s15
	s_cmp_lg_u32 s16, 0
	v_sub_co_u32 v3, s29, v2, s2
	s_subb_u32 s19, s19, s3
	s_cmp_lg_u32 s29, 0
	s_subb_u32 s19, s19, 0
	s_delay_alu instid0(VALU_DEP_1)
	v_cmp_le_u32_e32 vcc_lo, s2, v3
	s_cmp_ge_u32 s19, s3
	v_cmp_le_u32_e64 s2, s2, v2
	s_cselect_b32 s29, -1, 0
	s_cmp_eq_u32 s19, s3
	v_cndmask_b32_e64 v3, 0, -1, vcc_lo
	s_cselect_b32 vcc_lo, -1, 0
	s_add_u32 s19, s13, 1
	s_add_u32 s34, s13, 2
	s_cmp_lg_u32 s16, 0
	v_mov_b32_e32 v4, s34
	v_cndmask_b32_e64 v2, 0, -1, s2
	s_subb_u32 s2, s39, s15
	v_cndmask_b32_e32 v3, s29, v3, vcc_lo
	s_cmp_ge_u32 s2, s3
	s_cselect_b32 s15, -1, 0
	s_cmp_eq_u32 s2, s3
	s_cselect_b32 vcc_lo, -1, 0
	s_xor_b64 s[2:3], s[36:37], s[30:31]
	v_cndmask_b32_e32 v2, s15, v2, vcc_lo
	v_cmp_ne_u32_e32 vcc_lo, 0, v3
	v_cndmask_b32_e32 v3, s19, v4, vcc_lo
	s_delay_alu instid0(VALU_DEP_3) | instskip(NEXT) | instid1(VALU_DEP_2)
	v_cmp_ne_u32_e32 vcc_lo, 0, v2
	v_cndmask_b32_e32 v2, s13, v3, vcc_lo
	s_delay_alu instid0(VALU_DEP_1) | instskip(NEXT) | instid1(VALU_DEP_1)
	v_xor_b32_e32 v2, s2, v2
	v_sub_co_u32 v2, vcc_lo, v2, s2
	s_load_b32 s2, s[0:1], 0x5c
	s_and_not1_b32 vcc_lo, exec_lo, s28
	s_cbranch_vccnz .LBB0_10
.LBB0_9:
	v_cvt_f32_u32_e32 v2, s12
	s_sub_i32 s3, 0, s12
	s_delay_alu instid0(VALU_DEP_1) | instskip(SKIP_2) | instid1(VALU_DEP_1)
	v_rcp_iflag_f32_e32 v2, v2
	s_waitcnt_depctr 0xfff
	v_mul_f32_e32 v2, 0x4f7ffffe, v2
	v_cvt_u32_f32_e32 v2, v2
	s_delay_alu instid0(VALU_DEP_1) | instskip(NEXT) | instid1(VALU_DEP_1)
	v_mul_lo_u32 v3, s3, v2
	v_mul_hi_u32 v3, v2, v3
	s_delay_alu instid0(VALU_DEP_1) | instskip(NEXT) | instid1(VALU_DEP_1)
	v_add_nc_u32_e32 v2, v2, v3
	v_mul_hi_u32 v2, s14, v2
	s_delay_alu instid0(VALU_DEP_1) | instskip(SKIP_1) | instid1(VALU_DEP_2)
	v_mul_lo_u32 v3, v2, s12
	v_add_nc_u32_e32 v4, 1, v2
	v_sub_nc_u32_e32 v3, s14, v3
	s_delay_alu instid0(VALU_DEP_1) | instskip(SKIP_1) | instid1(VALU_DEP_2)
	v_subrev_nc_u32_e32 v5, s12, v3
	v_cmp_le_u32_e32 vcc_lo, s12, v3
	v_dual_cndmask_b32 v3, v3, v5 :: v_dual_cndmask_b32 v2, v2, v4
	s_delay_alu instid0(VALU_DEP_1) | instskip(NEXT) | instid1(VALU_DEP_2)
	v_cmp_le_u32_e32 vcc_lo, s12, v3
	v_add_nc_u32_e32 v4, 1, v2
	s_delay_alu instid0(VALU_DEP_1)
	v_cndmask_b32_e32 v2, v2, v4, vcc_lo
.LBB0_10:
	s_clause 0x1
	s_load_b128 s[12:15], s[0:1], 0x0
	s_load_b64 s[0:1], s[0:1], 0x10
	s_mul_i32 s3, s21, s20
	s_bfe_i64 s[28:29], s[22:23], 0x200000
	s_bfe_i64 s[30:31], s[26:27], 0x200000
	s_mul_hi_i32 s27, s21, s20
	s_mul_i32 s25, s3, s25
	s_mul_hi_u32 s28, s3, s24
	s_mul_i32 s27, s27, s24
	s_add_i32 s25, s28, s25
	s_mul_i32 s24, s3, s24
	s_add_i32 s25, s25, s27
	s_ashr_i32 s16, s20, 31
	s_lshl_b64 s[36:37], s[24:25], 3
	s_ashr_i32 s23, s21, 31
	s_waitcnt lgkmcnt(0)
	s_mul_hi_u32 s3, s6, s22
	s_mul_i32 s34, s6, s29
	s_mul_i32 s5, s5, s26
	s_mov_b32 s19, s20
	v_subrev_nc_u32_e32 v2, s22, v2
	s_add_u32 s24, s14, s36
	s_addc_u32 s25, s15, s37
	s_add_u32 s27, s0, s36
	s_addc_u32 s28, s1, s37
	s_add_i32 s0, s3, s34
	s_mul_hi_u32 s3, s4, s26
	s_mul_i32 s14, s4, s31
	s_mul_i32 s1, s7, s22
	s_add_i32 s3, s3, s14
	s_add_i32 s1, s0, s1
	s_mul_i32 s0, s6, s22
	s_add_i32 s5, s3, s5
	s_mul_i32 s4, s4, s26
	s_lshl_b64 s[0:1], s[0:1], 3
	s_lshl_b64 s[4:5], s[4:5], 3
	s_and_b32 s29, s33, 0xffff
	s_ashr_i32 s30, s17, 31
	s_ashr_i32 s26, s18, 31
	s_add_u32 s0, s0, s4
	s_addc_u32 s1, s1, s5
	s_add_u32 s12, s12, s0
	s_addc_u32 s13, s13, s1
	s_ashr_i32 s31, s20, 31
	v_cvt_f32_u32_e32 v4, s19
	s_add_i32 s0, s20, s31
	s_sub_i32 s1, 0, s20
	s_xor_b32 s33, s0, s31
	v_and_b32_e32 v0, 0x3ff, v0
	v_cvt_f32_u32_e32 v3, s33
	v_rcp_iflag_f32_e32 v4, v4
	s_sub_i32 s0, 0, s33
	v_add_nc_u32_e32 v7, 1, v2
	s_mov_b32 s34, s21
	v_rcp_iflag_f32_e32 v3, v3
	s_mul_i32 s35, s2, s35
	s_mov_b32 s36, s17
	v_max_i32_e32 v18, 1, v7
	s_mul_i32 s37, s22, s17
	s_lshl_b64 s[8:9], s[8:9], 3
	s_waitcnt_depctr 0xfff
	v_mul_f32_e32 v4, 0x4f7ffffe, v4
	s_lshl_b64 s[10:11], s[10:11], 3
	s_lshl_b64 s[6:7], s[6:7], 3
	s_mul_i32 s38, s18, s17
	v_mul_f32_e32 v3, 0x4f7ffffe, v3
	v_cvt_u32_f32_e32 v4, v4
	s_mov_b32 s39, 0
	s_delay_alu instid0(VALU_DEP_2) | instskip(NEXT) | instid1(VALU_DEP_2)
	v_cvt_u32_f32_e32 v5, v3
	v_mul_lo_u32 v6, s1, v4
	v_cmp_gt_u32_e64 s1, 0x7fffffff, v2
	s_delay_alu instid0(VALU_DEP_3) | instskip(NEXT) | instid1(VALU_DEP_3)
	v_mul_lo_u32 v3, s0, v5
	v_mul_hi_u32 v6, v4, v6
	s_delay_alu instid0(VALU_DEP_2) | instskip(SKIP_2) | instid1(VALU_DEP_4)
	v_mul_hi_u32 v8, v5, v3
	v_mov_b32_e32 v3, 0
	v_cmp_gt_i32_e64 s0, s21, v0
	v_add_nc_u32_e32 v20, v4, v6
	s_delay_alu instid0(VALU_DEP_4)
	v_add_nc_u32_e32 v19, v5, v8
	s_branch .LBB0_12
.LBB0_11:                               ;   in Loop: Header=BB0_12 Depth=1
	s_or_b32 exec_lo, exec_lo, s40
	v_add_nc_u32_e32 v1, s35, v1
	s_delay_alu instid0(VALU_DEP_1) | instskip(SKIP_1) | instid1(SALU_CYCLE_1)
	v_cmp_le_i32_e32 vcc_lo, s20, v1
	s_or_b32 s39, vcc_lo, s39
	s_and_not1_b32 exec_lo, exec_lo, s39
	s_cbranch_execz .LBB0_50
.LBB0_12:                               ; =>This Loop Header: Depth=1
                                        ;     Child Loop BB0_27 Depth 2
                                        ;       Child Loop BB0_43 Depth 3
                                        ;         Child Loop BB0_46 Depth 4
                                        ;           Child Loop BB0_48 Depth 5
	v_ashrrev_i32_e32 v7, 31, v1
	v_mov_b32_e32 v4, v3
	s_delay_alu instid0(VALU_DEP_2) | instskip(NEXT) | instid1(VALU_DEP_1)
	v_or_b32_e32 v5, s16, v7
	v_cmp_ne_u64_e32 vcc_lo, 0, v[4:5]
                                        ; implicit-def: $vgpr4_vgpr5
	s_and_saveexec_b32 s2, vcc_lo
	s_delay_alu instid0(SALU_CYCLE_1)
	s_xor_b32 s2, exec_lo, s2
	s_cbranch_execz .LBB0_14
; %bb.13:                               ;   in Loop: Header=BB0_12 Depth=1
	v_ashrrev_i32_e32 v2, 31, v1
	s_delay_alu instid0(VALU_DEP_1) | instskip(NEXT) | instid1(VALU_DEP_1)
	v_add_nc_u32_e32 v4, v1, v2
	v_xor_b32_e32 v4, v4, v2
	v_xor_b32_e32 v2, s31, v2
	s_delay_alu instid0(VALU_DEP_2) | instskip(NEXT) | instid1(VALU_DEP_1)
	v_mul_hi_u32 v5, v4, v19
	v_mul_lo_u32 v6, v5, s33
	s_delay_alu instid0(VALU_DEP_1) | instskip(SKIP_1) | instid1(VALU_DEP_2)
	v_sub_nc_u32_e32 v4, v4, v6
	v_add_nc_u32_e32 v6, 1, v5
	v_subrev_nc_u32_e32 v8, s33, v4
	v_cmp_le_u32_e32 vcc_lo, s33, v4
	s_delay_alu instid0(VALU_DEP_2) | instskip(NEXT) | instid1(VALU_DEP_1)
	v_dual_cndmask_b32 v4, v4, v8 :: v_dual_cndmask_b32 v5, v5, v6
	v_cmp_le_u32_e32 vcc_lo, s33, v4
	s_delay_alu instid0(VALU_DEP_2) | instskip(NEXT) | instid1(VALU_DEP_1)
	v_add_nc_u32_e32 v6, 1, v5
	v_cndmask_b32_e32 v4, v5, v6, vcc_lo
	s_delay_alu instid0(VALU_DEP_1) | instskip(NEXT) | instid1(VALU_DEP_1)
	v_xor_b32_e32 v4, v4, v2
	v_sub_nc_u32_e32 v4, v4, v2
	s_delay_alu instid0(VALU_DEP_1)
	v_ashrrev_i32_e32 v5, 31, v4
.LBB0_14:                               ;   in Loop: Header=BB0_12 Depth=1
	s_and_not1_saveexec_b32 s2, s2
	s_cbranch_execz .LBB0_16
; %bb.15:                               ;   in Loop: Header=BB0_12 Depth=1
	v_mul_hi_u32 v2, v1, v20
	s_delay_alu instid0(VALU_DEP_1) | instskip(SKIP_1) | instid1(VALU_DEP_2)
	v_mul_lo_u32 v4, v2, s19
	v_add_nc_u32_e32 v5, 1, v2
	v_sub_nc_u32_e32 v4, v1, v4
	s_delay_alu instid0(VALU_DEP_1) | instskip(SKIP_1) | instid1(VALU_DEP_2)
	v_subrev_nc_u32_e32 v6, s19, v4
	v_cmp_le_u32_e32 vcc_lo, s19, v4
	v_cndmask_b32_e32 v4, v4, v6, vcc_lo
	v_cndmask_b32_e32 v2, v2, v5, vcc_lo
	s_delay_alu instid0(VALU_DEP_2) | instskip(NEXT) | instid1(VALU_DEP_2)
	v_cmp_le_u32_e32 vcc_lo, s19, v4
	v_add_nc_u32_e32 v5, 1, v2
	s_delay_alu instid0(VALU_DEP_1) | instskip(NEXT) | instid1(VALU_DEP_1)
	v_cndmask_b32_e32 v2, v2, v5, vcc_lo
	v_dual_mov_b32 v5, v3 :: v_dual_mov_b32 v4, v2
.LBB0_16:                               ;   in Loop: Header=BB0_12 Depth=1
	s_or_b32 exec_lo, exec_lo, s2
	s_delay_alu instid0(VALU_DEP_1) | instskip(NEXT) | instid1(VALU_DEP_2)
	v_mul_lo_u32 v2, v5, s19
	v_mul_lo_u32 v8, v4, s16
	v_mad_u64_u32 v[5:6], null, v4, s19, 0
	s_delay_alu instid0(VALU_DEP_1) | instskip(NEXT) | instid1(VALU_DEP_2)
	v_add3_u32 v2, v6, v8, v2
	v_sub_co_u32 v8, vcc_lo, v1, v5
	s_delay_alu instid0(VALU_DEP_2) | instskip(NEXT) | instid1(VALU_DEP_2)
	v_sub_co_ci_u32_e32 v2, vcc_lo, v7, v2, vcc_lo
	v_mul_lo_u32 v9, v8, s30
	v_mad_u64_u32 v[5:6], null, v8, s36, 0
	s_delay_alu instid0(VALU_DEP_3) | instskip(SKIP_1) | instid1(VALU_DEP_2)
	v_mul_lo_u32 v2, v2, s36
	v_mov_b32_e32 v8, v3
	v_add3_u32 v6, v6, v9, v2
	s_delay_alu instid0(VALU_DEP_1) | instskip(NEXT) | instid1(VALU_DEP_1)
	v_or_b32_e32 v9, s16, v6
	v_cmp_ne_u64_e32 vcc_lo, 0, v[8:9]
                                        ; implicit-def: $vgpr8_vgpr9
	s_and_saveexec_b32 s2, vcc_lo
	s_delay_alu instid0(SALU_CYCLE_1)
	s_xor_b32 s3, exec_lo, s2
	s_cbranch_execz .LBB0_18
; %bb.17:                               ;   in Loop: Header=BB0_12 Depth=1
	s_add_u32 s14, s19, s16
	s_mov_b32 s4, s16
	s_mov_b32 s5, s16
	s_addc_u32 s15, s16, s16
	s_delay_alu instid0(SALU_CYCLE_1) | instskip(NEXT) | instid1(SALU_CYCLE_1)
	s_xor_b64 s[14:15], s[14:15], s[4:5]
	v_cvt_f32_u32_e32 v2, s14
	v_cvt_f32_u32_e32 v8, s15
	s_sub_u32 s2, 0, s14
	s_subb_u32 s40, 0, s15
	s_delay_alu instid0(VALU_DEP_1) | instskip(NEXT) | instid1(VALU_DEP_1)
	v_fmac_f32_e32 v2, 0x4f800000, v8
	v_rcp_f32_e32 v2, v2
	s_waitcnt_depctr 0xfff
	v_mul_f32_e32 v2, 0x5f7ffffc, v2
	s_delay_alu instid0(VALU_DEP_1) | instskip(NEXT) | instid1(VALU_DEP_1)
	v_mul_f32_e32 v8, 0x2f800000, v2
	v_trunc_f32_e32 v8, v8
	s_delay_alu instid0(VALU_DEP_1) | instskip(SKIP_1) | instid1(VALU_DEP_2)
	v_fmac_f32_e32 v2, 0xcf800000, v8
	v_cvt_u32_f32_e32 v8, v8
	v_cvt_u32_f32_e32 v2, v2
	s_delay_alu instid0(VALU_DEP_2) | instskip(NEXT) | instid1(VALU_DEP_2)
	v_mul_lo_u32 v9, s2, v8
	v_mul_hi_u32 v10, s2, v2
	v_mul_lo_u32 v11, s40, v2
	s_delay_alu instid0(VALU_DEP_2) | instskip(SKIP_1) | instid1(VALU_DEP_2)
	v_add_nc_u32_e32 v9, v10, v9
	v_mul_lo_u32 v10, s2, v2
	v_add_nc_u32_e32 v9, v9, v11
	s_delay_alu instid0(VALU_DEP_2) | instskip(NEXT) | instid1(VALU_DEP_2)
	v_mul_hi_u32 v11, v2, v10
	v_mul_lo_u32 v12, v2, v9
	v_mul_hi_u32 v13, v2, v9
	v_mul_hi_u32 v14, v8, v10
	v_mul_lo_u32 v10, v8, v10
	v_mul_hi_u32 v15, v8, v9
	v_mul_lo_u32 v9, v8, v9
	v_add_co_u32 v11, vcc_lo, v11, v12
	v_add_co_ci_u32_e32 v12, vcc_lo, 0, v13, vcc_lo
	s_delay_alu instid0(VALU_DEP_2) | instskip(NEXT) | instid1(VALU_DEP_2)
	v_add_co_u32 v10, vcc_lo, v11, v10
	v_add_co_ci_u32_e32 v10, vcc_lo, v12, v14, vcc_lo
	v_add_co_ci_u32_e32 v11, vcc_lo, 0, v15, vcc_lo
	v_ashrrev_i32_e32 v14, 31, v6
	s_delay_alu instid0(VALU_DEP_3) | instskip(NEXT) | instid1(VALU_DEP_3)
	v_add_co_u32 v9, vcc_lo, v10, v9
	v_add_co_ci_u32_e32 v10, vcc_lo, 0, v11, vcc_lo
	s_delay_alu instid0(VALU_DEP_2) | instskip(NEXT) | instid1(VALU_DEP_2)
	v_add_co_u32 v2, vcc_lo, v2, v9
	v_add_co_ci_u32_e32 v8, vcc_lo, v8, v10, vcc_lo
	s_delay_alu instid0(VALU_DEP_2) | instskip(SKIP_1) | instid1(VALU_DEP_3)
	v_mul_hi_u32 v9, s2, v2
	v_mul_lo_u32 v11, s40, v2
	v_mul_lo_u32 v10, s2, v8
	s_delay_alu instid0(VALU_DEP_1) | instskip(SKIP_1) | instid1(VALU_DEP_2)
	v_add_nc_u32_e32 v9, v9, v10
	v_mul_lo_u32 v10, s2, v2
	v_add_nc_u32_e32 v9, v9, v11
	s_delay_alu instid0(VALU_DEP_2) | instskip(NEXT) | instid1(VALU_DEP_2)
	v_mul_hi_u32 v11, v2, v10
	v_mul_lo_u32 v12, v2, v9
	v_mul_hi_u32 v13, v2, v9
	v_mul_hi_u32 v15, v8, v10
	v_mul_lo_u32 v10, v8, v10
	v_mul_hi_u32 v16, v8, v9
	v_mul_lo_u32 v9, v8, v9
	v_add_co_u32 v11, vcc_lo, v11, v12
	v_add_co_ci_u32_e32 v12, vcc_lo, 0, v13, vcc_lo
	s_delay_alu instid0(VALU_DEP_2) | instskip(NEXT) | instid1(VALU_DEP_2)
	v_add_co_u32 v10, vcc_lo, v11, v10
	v_add_co_ci_u32_e32 v10, vcc_lo, v12, v15, vcc_lo
	v_add_co_ci_u32_e32 v11, vcc_lo, 0, v16, vcc_lo
	v_add_co_u32 v5, vcc_lo, v5, v14
	v_add_co_ci_u32_e32 v6, vcc_lo, v6, v14, vcc_lo
	s_delay_alu instid0(VALU_DEP_4) | instskip(NEXT) | instid1(VALU_DEP_4)
	v_add_co_u32 v9, vcc_lo, v10, v9
	v_add_co_ci_u32_e32 v10, vcc_lo, 0, v11, vcc_lo
	s_delay_alu instid0(VALU_DEP_4) | instskip(NEXT) | instid1(VALU_DEP_3)
	v_xor_b32_e32 v12, v5, v14
	v_add_co_u32 v2, vcc_lo, v2, v9
	s_delay_alu instid0(VALU_DEP_3) | instskip(SKIP_1) | instid1(VALU_DEP_3)
	v_add_co_ci_u32_e32 v13, vcc_lo, v8, v10, vcc_lo
	v_xor_b32_e32 v15, v6, v14
	v_mul_hi_u32 v16, v12, v2
	s_delay_alu instid0(VALU_DEP_3) | instskip(NEXT) | instid1(VALU_DEP_3)
	v_mad_u64_u32 v[5:6], null, v12, v13, 0
	v_mad_u64_u32 v[8:9], null, v15, v2, 0
	;; [unrolled: 1-line block ×3, first 2 shown]
	s_delay_alu instid0(VALU_DEP_3) | instskip(NEXT) | instid1(VALU_DEP_4)
	v_add_co_u32 v2, vcc_lo, v16, v5
	v_add_co_ci_u32_e32 v5, vcc_lo, 0, v6, vcc_lo
	s_delay_alu instid0(VALU_DEP_2) | instskip(NEXT) | instid1(VALU_DEP_2)
	v_add_co_u32 v2, vcc_lo, v2, v8
	v_add_co_ci_u32_e32 v2, vcc_lo, v5, v9, vcc_lo
	v_add_co_ci_u32_e32 v5, vcc_lo, 0, v11, vcc_lo
	s_delay_alu instid0(VALU_DEP_2) | instskip(NEXT) | instid1(VALU_DEP_2)
	v_add_co_u32 v2, vcc_lo, v2, v10
	v_add_co_ci_u32_e32 v8, vcc_lo, 0, v5, vcc_lo
	s_delay_alu instid0(VALU_DEP_2) | instskip(SKIP_1) | instid1(VALU_DEP_3)
	v_mul_lo_u32 v9, s15, v2
	v_mad_u64_u32 v[5:6], null, s14, v2, 0
	v_mul_lo_u32 v10, s14, v8
	s_delay_alu instid0(VALU_DEP_2) | instskip(NEXT) | instid1(VALU_DEP_2)
	v_sub_co_u32 v5, vcc_lo, v12, v5
	v_add3_u32 v6, v6, v10, v9
	s_delay_alu instid0(VALU_DEP_1) | instskip(NEXT) | instid1(VALU_DEP_1)
	v_sub_nc_u32_e32 v9, v15, v6
	v_subrev_co_ci_u32_e64 v9, s2, s15, v9, vcc_lo
	v_add_co_u32 v10, s2, v2, 2
	s_delay_alu instid0(VALU_DEP_1) | instskip(SKIP_3) | instid1(VALU_DEP_3)
	v_add_co_ci_u32_e64 v11, s2, 0, v8, s2
	v_sub_co_u32 v12, s2, v5, s14
	v_sub_co_ci_u32_e32 v6, vcc_lo, v15, v6, vcc_lo
	v_subrev_co_ci_u32_e64 v9, s2, 0, v9, s2
	v_cmp_le_u32_e32 vcc_lo, s14, v12
	s_delay_alu instid0(VALU_DEP_3) | instskip(SKIP_1) | instid1(VALU_DEP_4)
	v_cmp_eq_u32_e64 s2, s15, v6
	v_cndmask_b32_e64 v12, 0, -1, vcc_lo
	v_cmp_le_u32_e32 vcc_lo, s15, v9
	v_cndmask_b32_e64 v13, 0, -1, vcc_lo
	v_cmp_le_u32_e32 vcc_lo, s14, v5
	v_cndmask_b32_e64 v5, 0, -1, vcc_lo
	v_cmp_le_u32_e32 vcc_lo, s15, v6
	v_cndmask_b32_e64 v15, 0, -1, vcc_lo
	v_cmp_eq_u32_e32 vcc_lo, s15, v9
	s_delay_alu instid0(VALU_DEP_2) | instskip(SKIP_3) | instid1(VALU_DEP_3)
	v_cndmask_b32_e64 v5, v15, v5, s2
	v_cndmask_b32_e32 v9, v13, v12, vcc_lo
	v_add_co_u32 v12, vcc_lo, v2, 1
	v_add_co_ci_u32_e32 v13, vcc_lo, 0, v8, vcc_lo
	v_cmp_ne_u32_e32 vcc_lo, 0, v9
	s_delay_alu instid0(VALU_DEP_2) | instskip(SKIP_2) | instid1(VALU_DEP_3)
	v_dual_cndmask_b32 v6, v13, v11 :: v_dual_cndmask_b32 v9, v12, v10
	v_cmp_ne_u32_e32 vcc_lo, 0, v5
	v_xor_b32_e32 v5, s4, v14
	v_cndmask_b32_e32 v2, v2, v9, vcc_lo
	s_delay_alu instid0(VALU_DEP_4) | instskip(SKIP_1) | instid1(VALU_DEP_3)
	v_cndmask_b32_e32 v6, v8, v6, vcc_lo
	v_xor_b32_e32 v9, s5, v14
	v_xor_b32_e32 v2, v2, v5
	s_delay_alu instid0(VALU_DEP_2) | instskip(NEXT) | instid1(VALU_DEP_2)
	v_xor_b32_e32 v6, v6, v9
	v_sub_co_u32 v8, vcc_lo, v2, v5
	s_delay_alu instid0(VALU_DEP_2)
	v_sub_co_ci_u32_e32 v9, vcc_lo, v6, v9, vcc_lo
                                        ; implicit-def: $vgpr5_vgpr6
.LBB0_18:                               ;   in Loop: Header=BB0_12 Depth=1
	s_and_not1_saveexec_b32 s2, s3
; %bb.19:                               ;   in Loop: Header=BB0_12 Depth=1
	v_mul_hi_u32 v2, v5, v20
	s_delay_alu instid0(VALU_DEP_1) | instskip(NEXT) | instid1(VALU_DEP_1)
	v_mul_lo_u32 v6, v2, s19
	v_sub_nc_u32_e32 v5, v5, v6
	s_delay_alu instid0(VALU_DEP_1) | instskip(SKIP_1) | instid1(VALU_DEP_2)
	v_subrev_nc_u32_e32 v8, s19, v5
	v_cmp_le_u32_e32 vcc_lo, s19, v5
	v_dual_cndmask_b32 v5, v5, v8 :: v_dual_add_nc_u32 v6, 1, v2
	s_delay_alu instid0(VALU_DEP_1) | instskip(NEXT) | instid1(VALU_DEP_2)
	v_cndmask_b32_e32 v2, v2, v6, vcc_lo
	v_cmp_le_u32_e32 vcc_lo, s19, v5
	s_delay_alu instid0(VALU_DEP_2) | instskip(NEXT) | instid1(VALU_DEP_1)
	v_add_nc_u32_e32 v6, 1, v2
	v_cndmask_b32_e32 v2, v2, v6, vcc_lo
	s_delay_alu instid0(VALU_DEP_1)
	v_dual_mov_b32 v9, v3 :: v_dual_mov_b32 v8, v2
; %bb.20:                               ;   in Loop: Header=BB0_12 Depth=1
	s_or_b32 exec_lo, exec_lo, s2
	v_add_co_u32 v2, vcc_lo, v1, 1
	v_add_co_ci_u32_e32 v5, vcc_lo, 0, v7, vcc_lo
	s_delay_alu instid0(VALU_DEP_2) | instskip(NEXT) | instid1(VALU_DEP_2)
	v_mul_lo_u32 v7, v2, s30
	v_mul_lo_u32 v10, v5, s36
	v_mad_u64_u32 v[5:6], null, v2, s36, -1
	s_delay_alu instid0(VALU_DEP_1) | instskip(SKIP_1) | instid1(VALU_DEP_2)
	v_add3_u32 v6, v10, v6, v7
	v_mov_b32_e32 v10, v3
	v_or_b32_e32 v11, s16, v6
	s_delay_alu instid0(VALU_DEP_1) | instskip(SKIP_1) | instid1(SALU_CYCLE_1)
	v_cmp_ne_u64_e32 vcc_lo, 0, v[10:11]
                                        ; implicit-def: $vgpr10_vgpr11
	s_and_saveexec_b32 s2, vcc_lo
	s_xor_b32 s3, exec_lo, s2
	s_cbranch_execnz .LBB0_23
; %bb.21:                               ;   in Loop: Header=BB0_12 Depth=1
	s_and_not1_saveexec_b32 s2, s3
	s_cbranch_execnz .LBB0_24
.LBB0_22:                               ;   in Loop: Header=BB0_12 Depth=1
	s_or_b32 exec_lo, exec_lo, s2
	s_and_saveexec_b32 s40, s0
	s_cbranch_execz .LBB0_11
	s_branch .LBB0_25
.LBB0_23:                               ;   in Loop: Header=BB0_12 Depth=1
	s_add_u32 s14, s19, s16
	s_mov_b32 s4, s16
	s_mov_b32 s5, s16
	s_addc_u32 s15, s16, s16
	s_delay_alu instid0(SALU_CYCLE_1) | instskip(NEXT) | instid1(SALU_CYCLE_1)
	s_xor_b64 s[14:15], s[14:15], s[4:5]
	v_cvt_f32_u32_e32 v2, s14
	v_cvt_f32_u32_e32 v7, s15
	s_sub_u32 s2, 0, s14
	s_subb_u32 s5, 0, s15
	s_delay_alu instid0(VALU_DEP_1) | instskip(NEXT) | instid1(VALU_DEP_1)
	v_fmac_f32_e32 v2, 0x4f800000, v7
	v_rcp_f32_e32 v2, v2
	s_waitcnt_depctr 0xfff
	v_mul_f32_e32 v2, 0x5f7ffffc, v2
	s_delay_alu instid0(VALU_DEP_1) | instskip(NEXT) | instid1(VALU_DEP_1)
	v_mul_f32_e32 v7, 0x2f800000, v2
	v_trunc_f32_e32 v7, v7
	s_delay_alu instid0(VALU_DEP_1) | instskip(SKIP_1) | instid1(VALU_DEP_2)
	v_fmac_f32_e32 v2, 0xcf800000, v7
	v_cvt_u32_f32_e32 v7, v7
	v_cvt_u32_f32_e32 v2, v2
	s_delay_alu instid0(VALU_DEP_2) | instskip(NEXT) | instid1(VALU_DEP_2)
	v_mul_lo_u32 v10, s2, v7
	v_mul_hi_u32 v11, s2, v2
	v_mul_lo_u32 v12, s5, v2
	s_delay_alu instid0(VALU_DEP_2) | instskip(SKIP_1) | instid1(VALU_DEP_2)
	v_add_nc_u32_e32 v10, v11, v10
	v_mul_lo_u32 v11, s2, v2
	v_add_nc_u32_e32 v10, v10, v12
	s_delay_alu instid0(VALU_DEP_2) | instskip(NEXT) | instid1(VALU_DEP_2)
	v_mul_hi_u32 v12, v2, v11
	v_mul_lo_u32 v13, v2, v10
	v_mul_hi_u32 v14, v2, v10
	v_mul_hi_u32 v15, v7, v11
	v_mul_lo_u32 v11, v7, v11
	v_mul_hi_u32 v16, v7, v10
	v_mul_lo_u32 v10, v7, v10
	v_add_co_u32 v12, vcc_lo, v12, v13
	v_add_co_ci_u32_e32 v13, vcc_lo, 0, v14, vcc_lo
	s_delay_alu instid0(VALU_DEP_2) | instskip(NEXT) | instid1(VALU_DEP_2)
	v_add_co_u32 v11, vcc_lo, v12, v11
	v_add_co_ci_u32_e32 v11, vcc_lo, v13, v15, vcc_lo
	v_add_co_ci_u32_e32 v12, vcc_lo, 0, v16, vcc_lo
	v_ashrrev_i32_e32 v15, 31, v6
	s_delay_alu instid0(VALU_DEP_3) | instskip(NEXT) | instid1(VALU_DEP_3)
	v_add_co_u32 v10, vcc_lo, v11, v10
	v_add_co_ci_u32_e32 v11, vcc_lo, 0, v12, vcc_lo
	s_delay_alu instid0(VALU_DEP_2) | instskip(NEXT) | instid1(VALU_DEP_2)
	v_add_co_u32 v2, vcc_lo, v2, v10
	v_add_co_ci_u32_e32 v7, vcc_lo, v7, v11, vcc_lo
	s_delay_alu instid0(VALU_DEP_2) | instskip(SKIP_1) | instid1(VALU_DEP_3)
	v_mul_hi_u32 v10, s2, v2
	v_mul_lo_u32 v12, s5, v2
	v_mul_lo_u32 v11, s2, v7
	s_delay_alu instid0(VALU_DEP_1) | instskip(SKIP_1) | instid1(VALU_DEP_2)
	v_add_nc_u32_e32 v10, v10, v11
	v_mul_lo_u32 v11, s2, v2
	v_add_nc_u32_e32 v10, v10, v12
	s_delay_alu instid0(VALU_DEP_2) | instskip(NEXT) | instid1(VALU_DEP_2)
	v_mul_hi_u32 v12, v2, v11
	v_mul_lo_u32 v13, v2, v10
	v_mul_hi_u32 v14, v2, v10
	v_mul_hi_u32 v16, v7, v11
	v_mul_lo_u32 v11, v7, v11
	v_mul_hi_u32 v17, v7, v10
	v_mul_lo_u32 v10, v7, v10
	v_add_co_u32 v12, vcc_lo, v12, v13
	v_add_co_ci_u32_e32 v13, vcc_lo, 0, v14, vcc_lo
	s_delay_alu instid0(VALU_DEP_2) | instskip(NEXT) | instid1(VALU_DEP_2)
	v_add_co_u32 v11, vcc_lo, v12, v11
	v_add_co_ci_u32_e32 v11, vcc_lo, v13, v16, vcc_lo
	v_add_co_ci_u32_e32 v12, vcc_lo, 0, v17, vcc_lo
	v_add_co_u32 v5, vcc_lo, v5, v15
	v_add_co_ci_u32_e32 v6, vcc_lo, v6, v15, vcc_lo
	s_delay_alu instid0(VALU_DEP_4) | instskip(NEXT) | instid1(VALU_DEP_4)
	v_add_co_u32 v10, vcc_lo, v11, v10
	v_add_co_ci_u32_e32 v11, vcc_lo, 0, v12, vcc_lo
	s_delay_alu instid0(VALU_DEP_4) | instskip(NEXT) | instid1(VALU_DEP_3)
	v_xor_b32_e32 v14, v5, v15
	v_add_co_u32 v2, vcc_lo, v2, v10
	s_delay_alu instid0(VALU_DEP_3) | instskip(SKIP_1) | instid1(VALU_DEP_3)
	v_add_co_ci_u32_e32 v7, vcc_lo, v7, v11, vcc_lo
	v_xor_b32_e32 v16, v6, v15
	v_mul_hi_u32 v17, v14, v2
	s_delay_alu instid0(VALU_DEP_3) | instskip(NEXT) | instid1(VALU_DEP_3)
	v_mad_u64_u32 v[5:6], null, v14, v7, 0
	v_mad_u64_u32 v[10:11], null, v16, v2, 0
	;; [unrolled: 1-line block ×3, first 2 shown]
	s_delay_alu instid0(VALU_DEP_3) | instskip(NEXT) | instid1(VALU_DEP_4)
	v_add_co_u32 v2, vcc_lo, v17, v5
	v_add_co_ci_u32_e32 v5, vcc_lo, 0, v6, vcc_lo
	s_delay_alu instid0(VALU_DEP_2) | instskip(NEXT) | instid1(VALU_DEP_2)
	v_add_co_u32 v2, vcc_lo, v2, v10
	v_add_co_ci_u32_e32 v2, vcc_lo, v5, v11, vcc_lo
	v_add_co_ci_u32_e32 v5, vcc_lo, 0, v13, vcc_lo
	s_delay_alu instid0(VALU_DEP_2) | instskip(NEXT) | instid1(VALU_DEP_2)
	v_add_co_u32 v2, vcc_lo, v2, v12
	v_add_co_ci_u32_e32 v7, vcc_lo, 0, v5, vcc_lo
	s_delay_alu instid0(VALU_DEP_2) | instskip(SKIP_1) | instid1(VALU_DEP_3)
	v_mul_lo_u32 v10, s15, v2
	v_mad_u64_u32 v[5:6], null, s14, v2, 0
	v_mul_lo_u32 v7, s14, v7
	s_delay_alu instid0(VALU_DEP_2) | instskip(NEXT) | instid1(VALU_DEP_2)
	v_sub_co_u32 v5, vcc_lo, v14, v5
	v_add3_u32 v6, v6, v7, v10
	v_add_co_u32 v10, s2, v2, 2
	s_delay_alu instid0(VALU_DEP_2) | instskip(NEXT) | instid1(VALU_DEP_1)
	v_sub_nc_u32_e32 v7, v16, v6
	v_subrev_co_ci_u32_e64 v7, s2, s15, v7, vcc_lo
	v_sub_co_u32 v11, s2, v5, s14
	v_sub_co_ci_u32_e32 v6, vcc_lo, v16, v6, vcc_lo
	s_delay_alu instid0(VALU_DEP_3) | instskip(NEXT) | instid1(VALU_DEP_3)
	v_subrev_co_ci_u32_e64 v7, s2, 0, v7, s2
	v_cmp_le_u32_e32 vcc_lo, s14, v11
	v_cndmask_b32_e64 v11, 0, -1, vcc_lo
	s_delay_alu instid0(VALU_DEP_3)
	v_cmp_le_u32_e32 vcc_lo, s15, v7
	v_cndmask_b32_e64 v12, 0, -1, vcc_lo
	v_cmp_le_u32_e32 vcc_lo, s14, v5
	v_cndmask_b32_e64 v5, 0, -1, vcc_lo
	;; [unrolled: 2-line block ×3, first 2 shown]
	v_cmp_eq_u32_e32 vcc_lo, s15, v7
	v_cndmask_b32_e32 v7, v12, v11, vcc_lo
	v_add_co_u32 v11, vcc_lo, v2, 1
	v_cmp_eq_u32_e32 vcc_lo, s15, v6
	v_cndmask_b32_e32 v5, v13, v5, vcc_lo
	s_delay_alu instid0(VALU_DEP_4) | instskip(NEXT) | instid1(VALU_DEP_4)
	v_cmp_ne_u32_e32 vcc_lo, 0, v7
	v_cndmask_b32_e32 v6, v11, v10, vcc_lo
	s_delay_alu instid0(VALU_DEP_3) | instskip(SKIP_1) | instid1(VALU_DEP_3)
	v_cmp_ne_u32_e32 vcc_lo, 0, v5
	v_xor_b32_e32 v5, s4, v15
	v_cndmask_b32_e32 v2, v2, v6, vcc_lo
	s_delay_alu instid0(VALU_DEP_1) | instskip(NEXT) | instid1(VALU_DEP_1)
	v_xor_b32_e32 v2, v2, v5
	v_sub_co_u32 v10, vcc_lo, v2, v5
                                        ; implicit-def: $vgpr5_vgpr6
	s_and_not1_saveexec_b32 s2, s3
	s_cbranch_execz .LBB0_22
.LBB0_24:                               ;   in Loop: Header=BB0_12 Depth=1
	v_mul_hi_u32 v2, v5, v20
	s_delay_alu instid0(VALU_DEP_1) | instskip(NEXT) | instid1(VALU_DEP_1)
	v_mul_lo_u32 v6, v2, s19
	v_sub_nc_u32_e32 v5, v5, v6
	s_delay_alu instid0(VALU_DEP_1) | instskip(SKIP_1) | instid1(VALU_DEP_2)
	v_subrev_nc_u32_e32 v7, s19, v5
	v_cmp_le_u32_e32 vcc_lo, s19, v5
	v_dual_cndmask_b32 v5, v5, v7 :: v_dual_add_nc_u32 v6, 1, v2
	s_delay_alu instid0(VALU_DEP_1) | instskip(NEXT) | instid1(VALU_DEP_2)
	v_cndmask_b32_e32 v2, v2, v6, vcc_lo
	v_cmp_le_u32_e32 vcc_lo, s19, v5
	s_delay_alu instid0(VALU_DEP_2) | instskip(NEXT) | instid1(VALU_DEP_1)
	v_add_nc_u32_e32 v6, 1, v2
	v_cndmask_b32_e32 v10, v2, v6, vcc_lo
	s_or_b32 exec_lo, exec_lo, s2
	s_and_saveexec_b32 s40, s0
	s_cbranch_execz .LBB0_11
.LBB0_25:                               ;   in Loop: Header=BB0_12 Depth=1
	v_mul_lo_u32 v5, v1, s21
	v_mad_u64_u32 v[11:12], null, v4, s36, v[8:9]
	v_add_nc_u32_e32 v2, s22, v4
	s_mov_b32 s41, 0
	s_delay_alu instid0(VALU_DEP_3) | instskip(NEXT) | instid1(VALU_DEP_3)
	v_ashrrev_i32_e32 v6, 31, v5
	v_sub_nc_u32_e32 v9, v10, v11
	v_ashrrev_i32_e32 v10, 31, v11
	v_add_nc_u32_e32 v12, s37, v11
	v_mul_lo_u32 v13, s9, v11
	v_lshlrev_b64 v[6:7], 3, v[5:6]
	v_add_nc_u32_e32 v21, 1, v9
	v_mul_lo_u32 v9, s8, v10
	v_mad_u64_u32 v[4:5], null, s8, v11, s[12:13]
	v_mul_lo_u32 v26, v12, s18
	v_add_co_u32 v22, vcc_lo, s24, v6
	v_add_co_ci_u32_e32 v23, vcc_lo, s25, v7, vcc_lo
	v_add_co_u32 v24, vcc_lo, s27, v6
	v_add_co_ci_u32_e32 v25, vcc_lo, s28, v7, vcc_lo
	v_mad_u64_u32 v[6:7], null, s17, v2, v[8:9]
	v_mov_b32_e32 v2, v0
	v_cmp_lt_i32_e64 s2, 0, v21
	v_add3_u32 v5, v13, v5, v9
	s_branch .LBB0_27
.LBB0_26:                               ;   in Loop: Header=BB0_27 Depth=2
	v_lshlrev_b64 v[7:8], 3, v[2:3]
	v_add_nc_u32_e32 v2, s29, v2
	s_delay_alu instid0(VALU_DEP_1) | instskip(NEXT) | instid1(VALU_DEP_3)
	v_cmp_le_i32_e32 vcc_lo, s21, v2
	v_add_co_u32 v13, s3, v22, v7
	s_delay_alu instid0(VALU_DEP_1) | instskip(SKIP_1) | instid1(VALU_DEP_1)
	v_add_co_ci_u32_e64 v14, s3, v23, v8, s3
	v_add_co_u32 v7, s3, v24, v7
	v_add_co_ci_u32_e64 v8, s3, v25, v8, s3
	s_or_b32 s41, vcc_lo, s41
	global_store_b64 v[13:14], v[11:12], off
	global_store_b64 v[7:8], v[9:10], off
	s_and_not1_b32 exec_lo, exec_lo, s41
	s_cbranch_execz .LBB0_11
.LBB0_27:                               ;   Parent Loop BB0_12 Depth=1
                                        ; =>  This Loop Header: Depth=2
                                        ;       Child Loop BB0_43 Depth 3
                                        ;         Child Loop BB0_46 Depth 4
                                        ;           Child Loop BB0_48 Depth 5
	v_or_b32_e64 v8, 0, s23
	v_mov_b32_e32 v7, v3
	s_delay_alu instid0(VALU_DEP_1) | instskip(SKIP_1) | instid1(SALU_CYCLE_1)
	v_cmp_ne_u64_e32 vcc_lo, 0, v[7:8]
                                        ; implicit-def: $vgpr7_vgpr8
	s_and_saveexec_b32 s3, vcc_lo
	s_xor_b32 s42, exec_lo, s3
	s_cbranch_execz .LBB0_29
; %bb.28:                               ;   in Loop: Header=BB0_27 Depth=2
	s_add_u32 s14, s34, s23
	s_mov_b32 s4, s23
	s_mov_b32 s5, s23
	s_addc_u32 s15, s23, s23
	s_delay_alu instid0(SALU_CYCLE_1) | instskip(NEXT) | instid1(SALU_CYCLE_1)
	s_xor_b64 s[14:15], s[14:15], s[4:5]
	v_cvt_f32_u32_e32 v7, s14
	v_cvt_f32_u32_e32 v8, s15
	s_sub_u32 s3, 0, s14
	s_subb_u32 s43, 0, s15
	s_delay_alu instid0(VALU_DEP_1) | instskip(NEXT) | instid1(VALU_DEP_1)
	v_fmac_f32_e32 v7, 0x4f800000, v8
	v_rcp_f32_e32 v7, v7
	s_waitcnt_depctr 0xfff
	v_mul_f32_e32 v7, 0x5f7ffffc, v7
	s_delay_alu instid0(VALU_DEP_1) | instskip(NEXT) | instid1(VALU_DEP_1)
	v_mul_f32_e32 v8, 0x2f800000, v7
	v_trunc_f32_e32 v8, v8
	s_delay_alu instid0(VALU_DEP_1) | instskip(SKIP_1) | instid1(VALU_DEP_2)
	v_fmac_f32_e32 v7, 0xcf800000, v8
	v_cvt_u32_f32_e32 v8, v8
	v_cvt_u32_f32_e32 v7, v7
	s_delay_alu instid0(VALU_DEP_2) | instskip(NEXT) | instid1(VALU_DEP_2)
	v_mul_lo_u32 v9, s3, v8
	v_mul_hi_u32 v10, s3, v7
	v_mul_lo_u32 v11, s43, v7
	s_delay_alu instid0(VALU_DEP_2) | instskip(SKIP_1) | instid1(VALU_DEP_2)
	v_add_nc_u32_e32 v9, v10, v9
	v_mul_lo_u32 v10, s3, v7
	v_add_nc_u32_e32 v9, v9, v11
	s_delay_alu instid0(VALU_DEP_2) | instskip(NEXT) | instid1(VALU_DEP_2)
	v_mul_hi_u32 v11, v7, v10
	v_mul_lo_u32 v12, v7, v9
	v_mul_hi_u32 v13, v7, v9
	v_mul_hi_u32 v14, v8, v10
	v_mul_lo_u32 v10, v8, v10
	v_mul_hi_u32 v15, v8, v9
	v_mul_lo_u32 v9, v8, v9
	v_add_co_u32 v11, vcc_lo, v11, v12
	v_add_co_ci_u32_e32 v12, vcc_lo, 0, v13, vcc_lo
	s_delay_alu instid0(VALU_DEP_2) | instskip(NEXT) | instid1(VALU_DEP_2)
	v_add_co_u32 v10, vcc_lo, v11, v10
	v_add_co_ci_u32_e32 v10, vcc_lo, v12, v14, vcc_lo
	v_add_co_ci_u32_e32 v11, vcc_lo, 0, v15, vcc_lo
	v_ashrrev_i32_e64 v14, 31, 0
	s_delay_alu instid0(VALU_DEP_3) | instskip(NEXT) | instid1(VALU_DEP_3)
	v_add_co_u32 v9, vcc_lo, v10, v9
	v_add_co_ci_u32_e32 v10, vcc_lo, 0, v11, vcc_lo
	s_delay_alu instid0(VALU_DEP_2) | instskip(NEXT) | instid1(VALU_DEP_2)
	v_add_co_u32 v7, vcc_lo, v7, v9
	v_add_co_ci_u32_e32 v8, vcc_lo, v8, v10, vcc_lo
	s_delay_alu instid0(VALU_DEP_2) | instskip(SKIP_1) | instid1(VALU_DEP_3)
	v_mul_hi_u32 v9, s3, v7
	v_mul_lo_u32 v11, s43, v7
	v_mul_lo_u32 v10, s3, v8
	s_delay_alu instid0(VALU_DEP_1) | instskip(SKIP_1) | instid1(VALU_DEP_2)
	v_add_nc_u32_e32 v9, v9, v10
	v_mul_lo_u32 v10, s3, v7
	v_add_nc_u32_e32 v9, v9, v11
	s_delay_alu instid0(VALU_DEP_2) | instskip(NEXT) | instid1(VALU_DEP_2)
	v_mul_hi_u32 v11, v7, v10
	v_mul_lo_u32 v12, v7, v9
	v_mul_hi_u32 v13, v7, v9
	v_mul_hi_u32 v15, v8, v10
	v_mul_lo_u32 v10, v8, v10
	v_mul_hi_u32 v16, v8, v9
	v_mul_lo_u32 v9, v8, v9
	v_add_co_u32 v11, vcc_lo, v11, v12
	v_add_co_ci_u32_e32 v12, vcc_lo, 0, v13, vcc_lo
	s_delay_alu instid0(VALU_DEP_2) | instskip(NEXT) | instid1(VALU_DEP_2)
	v_add_co_u32 v10, vcc_lo, v11, v10
	v_add_co_ci_u32_e32 v10, vcc_lo, v12, v15, vcc_lo
	v_add_co_ci_u32_e32 v11, vcc_lo, 0, v16, vcc_lo
	v_add_co_u32 v12, vcc_lo, v2, v14
	v_add_co_ci_u32_e32 v13, vcc_lo, 0, v14, vcc_lo
	s_delay_alu instid0(VALU_DEP_4) | instskip(NEXT) | instid1(VALU_DEP_4)
	v_add_co_u32 v9, vcc_lo, v10, v9
	v_add_co_ci_u32_e32 v10, vcc_lo, 0, v11, vcc_lo
	s_delay_alu instid0(VALU_DEP_4) | instskip(NEXT) | instid1(VALU_DEP_3)
	v_xor_b32_e32 v15, v12, v14
	v_add_co_u32 v11, vcc_lo, v7, v9
	s_delay_alu instid0(VALU_DEP_3) | instskip(SKIP_1) | instid1(VALU_DEP_3)
	v_add_co_ci_u32_e32 v16, vcc_lo, v8, v10, vcc_lo
	v_xor_b32_e32 v13, v13, v14
	v_mul_hi_u32 v17, v15, v11
	s_delay_alu instid0(VALU_DEP_3) | instskip(NEXT) | instid1(VALU_DEP_3)
	v_mad_u64_u32 v[7:8], null, v15, v16, 0
	v_mad_u64_u32 v[9:10], null, v13, v11, 0
	;; [unrolled: 1-line block ×3, first 2 shown]
	s_delay_alu instid0(VALU_DEP_3) | instskip(NEXT) | instid1(VALU_DEP_4)
	v_add_co_u32 v7, vcc_lo, v17, v7
	v_add_co_ci_u32_e32 v8, vcc_lo, 0, v8, vcc_lo
	s_delay_alu instid0(VALU_DEP_2) | instskip(NEXT) | instid1(VALU_DEP_2)
	v_add_co_u32 v7, vcc_lo, v7, v9
	v_add_co_ci_u32_e32 v7, vcc_lo, v8, v10, vcc_lo
	v_add_co_ci_u32_e32 v8, vcc_lo, 0, v12, vcc_lo
	s_delay_alu instid0(VALU_DEP_2) | instskip(NEXT) | instid1(VALU_DEP_2)
	v_add_co_u32 v9, vcc_lo, v7, v11
	v_add_co_ci_u32_e32 v10, vcc_lo, 0, v8, vcc_lo
	s_delay_alu instid0(VALU_DEP_2) | instskip(SKIP_1) | instid1(VALU_DEP_3)
	v_mul_lo_u32 v11, s15, v9
	v_mad_u64_u32 v[7:8], null, s14, v9, 0
	v_mul_lo_u32 v12, s14, v10
	s_delay_alu instid0(VALU_DEP_2) | instskip(NEXT) | instid1(VALU_DEP_2)
	v_sub_co_u32 v7, vcc_lo, v15, v7
	v_add3_u32 v8, v8, v12, v11
	s_delay_alu instid0(VALU_DEP_1) | instskip(NEXT) | instid1(VALU_DEP_1)
	v_sub_nc_u32_e32 v11, v13, v8
	v_subrev_co_ci_u32_e64 v11, s3, s15, v11, vcc_lo
	v_add_co_u32 v12, s3, v9, 2
	s_delay_alu instid0(VALU_DEP_1) | instskip(SKIP_3) | instid1(VALU_DEP_3)
	v_add_co_ci_u32_e64 v15, s3, 0, v10, s3
	v_sub_co_u32 v16, s3, v7, s14
	v_sub_co_ci_u32_e32 v8, vcc_lo, v13, v8, vcc_lo
	v_subrev_co_ci_u32_e64 v11, s3, 0, v11, s3
	v_cmp_le_u32_e32 vcc_lo, s14, v16
	s_delay_alu instid0(VALU_DEP_3) | instskip(SKIP_1) | instid1(VALU_DEP_4)
	v_cmp_eq_u32_e64 s3, s15, v8
	v_cndmask_b32_e64 v13, 0, -1, vcc_lo
	v_cmp_le_u32_e32 vcc_lo, s15, v11
	v_cndmask_b32_e64 v16, 0, -1, vcc_lo
	v_cmp_le_u32_e32 vcc_lo, s14, v7
	;; [unrolled: 2-line block ×3, first 2 shown]
	v_cndmask_b32_e64 v17, 0, -1, vcc_lo
	v_cmp_eq_u32_e32 vcc_lo, s15, v11
	s_delay_alu instid0(VALU_DEP_2) | instskip(SKIP_3) | instid1(VALU_DEP_3)
	v_cndmask_b32_e64 v7, v17, v7, s3
	v_cndmask_b32_e32 v11, v16, v13, vcc_lo
	v_add_co_u32 v13, vcc_lo, v9, 1
	v_add_co_ci_u32_e32 v16, vcc_lo, 0, v10, vcc_lo
	v_cmp_ne_u32_e32 vcc_lo, 0, v11
	s_delay_alu instid0(VALU_DEP_2) | instskip(SKIP_2) | instid1(VALU_DEP_3)
	v_dual_cndmask_b32 v8, v16, v15 :: v_dual_cndmask_b32 v11, v13, v12
	v_cmp_ne_u32_e32 vcc_lo, 0, v7
	v_xor_b32_e32 v7, s4, v14
	v_dual_cndmask_b32 v9, v9, v11 :: v_dual_cndmask_b32 v8, v10, v8
	v_xor_b32_e32 v10, s5, v14
	s_delay_alu instid0(VALU_DEP_2) | instskip(NEXT) | instid1(VALU_DEP_2)
	v_xor_b32_e32 v9, v9, v7
	v_xor_b32_e32 v8, v8, v10
	s_delay_alu instid0(VALU_DEP_2) | instskip(NEXT) | instid1(VALU_DEP_2)
	v_sub_co_u32 v7, vcc_lo, v9, v7
	v_sub_co_ci_u32_e32 v8, vcc_lo, v8, v10, vcc_lo
.LBB0_29:                               ;   in Loop: Header=BB0_27 Depth=2
	s_or_saveexec_b32 s3, s42
	v_cvt_f32_u32_e32 v12, s34
	s_xor_b32 exec_lo, exec_lo, s3
	s_cbranch_execz .LBB0_31
; %bb.30:                               ;   in Loop: Header=BB0_27 Depth=2
	s_delay_alu instid0(VALU_DEP_1) | instskip(SKIP_3) | instid1(VALU_DEP_1)
	v_rcp_iflag_f32_e32 v7, v12
	s_sub_i32 s4, 0, s34
	s_waitcnt_depctr 0xfff
	v_mul_f32_e32 v7, 0x4f7ffffe, v7
	v_cvt_u32_f32_e32 v7, v7
	s_delay_alu instid0(VALU_DEP_1) | instskip(NEXT) | instid1(VALU_DEP_1)
	v_mul_lo_u32 v8, s4, v7
	v_mul_hi_u32 v8, v7, v8
	s_delay_alu instid0(VALU_DEP_1) | instskip(NEXT) | instid1(VALU_DEP_1)
	v_add_nc_u32_e32 v7, v7, v8
	v_mul_hi_u32 v7, v2, v7
	s_delay_alu instid0(VALU_DEP_1) | instskip(SKIP_1) | instid1(VALU_DEP_2)
	v_mul_lo_u32 v8, v7, s34
	v_add_nc_u32_e32 v9, 1, v7
	v_sub_nc_u32_e32 v8, v2, v8
	s_delay_alu instid0(VALU_DEP_1) | instskip(SKIP_1) | instid1(VALU_DEP_2)
	v_subrev_nc_u32_e32 v10, s34, v8
	v_cmp_le_u32_e32 vcc_lo, s34, v8
	v_dual_cndmask_b32 v8, v8, v10 :: v_dual_cndmask_b32 v7, v7, v9
	s_delay_alu instid0(VALU_DEP_1) | instskip(NEXT) | instid1(VALU_DEP_2)
	v_cmp_le_u32_e32 vcc_lo, s34, v8
	v_dual_mov_b32 v8, v3 :: v_dual_add_nc_u32 v9, 1, v7
	s_delay_alu instid0(VALU_DEP_1)
	v_cndmask_b32_e32 v7, v7, v9, vcc_lo
.LBB0_31:                               ;   in Loop: Header=BB0_27 Depth=2
	s_or_b32 exec_lo, exec_lo, s3
	s_delay_alu instid0(VALU_DEP_2) | instskip(NEXT) | instid1(VALU_DEP_2)
	v_mul_lo_u32 v10, v8, s34
	v_mul_lo_u32 v11, v7, s23
	v_mad_u64_u32 v[8:9], null, v7, s34, 0
	s_delay_alu instid0(VALU_DEP_1) | instskip(NEXT) | instid1(VALU_DEP_2)
	v_add3_u32 v9, v9, v11, v10
	v_sub_co_u32 v8, vcc_lo, v2, v8
	s_delay_alu instid0(VALU_DEP_2) | instskip(NEXT) | instid1(VALU_DEP_2)
	v_sub_co_ci_u32_e32 v9, vcc_lo, 0, v9, vcc_lo
	v_mul_lo_u32 v13, v8, s26
	v_mad_u64_u32 v[10:11], null, v8, s18, 0
	s_delay_alu instid0(VALU_DEP_3) | instskip(NEXT) | instid1(VALU_DEP_1)
	v_mul_lo_u32 v8, v9, s18
	v_add3_u32 v11, v11, v13, v8
	v_mov_b32_e32 v8, v3
	s_delay_alu instid0(VALU_DEP_2) | instskip(NEXT) | instid1(VALU_DEP_1)
	v_or_b32_e32 v9, s23, v11
	v_cmp_ne_u64_e32 vcc_lo, 0, v[8:9]
                                        ; implicit-def: $vgpr8_vgpr9
	s_and_saveexec_b32 s3, vcc_lo
	s_delay_alu instid0(SALU_CYCLE_1)
	s_xor_b32 s42, exec_lo, s3
	s_cbranch_execz .LBB0_33
; %bb.32:                               ;   in Loop: Header=BB0_27 Depth=2
	s_add_u32 s14, s34, s23
	s_mov_b32 s4, s23
	s_mov_b32 s5, s23
	s_addc_u32 s15, s23, s23
	s_delay_alu instid0(SALU_CYCLE_1) | instskip(NEXT) | instid1(SALU_CYCLE_1)
	s_xor_b64 s[14:15], s[14:15], s[4:5]
	v_cvt_f32_u32_e32 v8, s14
	v_cvt_f32_u32_e32 v9, s15
	s_sub_u32 s3, 0, s14
	s_subb_u32 s43, 0, s15
	s_delay_alu instid0(VALU_DEP_1) | instskip(NEXT) | instid1(VALU_DEP_1)
	v_fmac_f32_e32 v8, 0x4f800000, v9
	v_rcp_f32_e32 v8, v8
	s_waitcnt_depctr 0xfff
	v_mul_f32_e32 v8, 0x5f7ffffc, v8
	s_delay_alu instid0(VALU_DEP_1) | instskip(NEXT) | instid1(VALU_DEP_1)
	v_mul_f32_e32 v9, 0x2f800000, v8
	v_trunc_f32_e32 v9, v9
	s_delay_alu instid0(VALU_DEP_1) | instskip(SKIP_1) | instid1(VALU_DEP_2)
	v_fmac_f32_e32 v8, 0xcf800000, v9
	v_cvt_u32_f32_e32 v9, v9
	v_cvt_u32_f32_e32 v8, v8
	s_delay_alu instid0(VALU_DEP_2) | instskip(NEXT) | instid1(VALU_DEP_2)
	v_mul_lo_u32 v13, s3, v9
	v_mul_hi_u32 v14, s3, v8
	v_mul_lo_u32 v15, s43, v8
	s_delay_alu instid0(VALU_DEP_2) | instskip(SKIP_1) | instid1(VALU_DEP_2)
	v_add_nc_u32_e32 v13, v14, v13
	v_mul_lo_u32 v14, s3, v8
	v_add_nc_u32_e32 v13, v13, v15
	s_delay_alu instid0(VALU_DEP_2) | instskip(NEXT) | instid1(VALU_DEP_2)
	v_mul_hi_u32 v15, v8, v14
	v_mul_lo_u32 v16, v8, v13
	v_mul_hi_u32 v17, v8, v13
	v_mul_hi_u32 v27, v9, v14
	v_mul_lo_u32 v14, v9, v14
	v_mul_hi_u32 v28, v9, v13
	v_mul_lo_u32 v13, v9, v13
	v_add_co_u32 v15, vcc_lo, v15, v16
	v_add_co_ci_u32_e32 v16, vcc_lo, 0, v17, vcc_lo
	s_delay_alu instid0(VALU_DEP_2) | instskip(NEXT) | instid1(VALU_DEP_2)
	v_add_co_u32 v14, vcc_lo, v15, v14
	v_add_co_ci_u32_e32 v14, vcc_lo, v16, v27, vcc_lo
	v_add_co_ci_u32_e32 v15, vcc_lo, 0, v28, vcc_lo
	v_ashrrev_i32_e32 v27, 31, v11
	s_delay_alu instid0(VALU_DEP_3) | instskip(NEXT) | instid1(VALU_DEP_3)
	v_add_co_u32 v13, vcc_lo, v14, v13
	v_add_co_ci_u32_e32 v14, vcc_lo, 0, v15, vcc_lo
	s_delay_alu instid0(VALU_DEP_2) | instskip(NEXT) | instid1(VALU_DEP_2)
	v_add_co_u32 v8, vcc_lo, v8, v13
	v_add_co_ci_u32_e32 v9, vcc_lo, v9, v14, vcc_lo
	s_delay_alu instid0(VALU_DEP_2) | instskip(SKIP_1) | instid1(VALU_DEP_3)
	v_mul_hi_u32 v13, s3, v8
	v_mul_lo_u32 v15, s43, v8
	v_mul_lo_u32 v14, s3, v9
	s_delay_alu instid0(VALU_DEP_1) | instskip(SKIP_1) | instid1(VALU_DEP_2)
	v_add_nc_u32_e32 v13, v13, v14
	v_mul_lo_u32 v14, s3, v8
	v_add_nc_u32_e32 v13, v13, v15
	s_delay_alu instid0(VALU_DEP_2) | instskip(NEXT) | instid1(VALU_DEP_2)
	v_mul_hi_u32 v15, v8, v14
	v_mul_lo_u32 v16, v8, v13
	v_mul_hi_u32 v17, v8, v13
	v_mul_hi_u32 v28, v9, v14
	v_mul_lo_u32 v14, v9, v14
	v_mul_hi_u32 v29, v9, v13
	v_mul_lo_u32 v13, v9, v13
	v_add_co_u32 v15, vcc_lo, v15, v16
	v_add_co_ci_u32_e32 v16, vcc_lo, 0, v17, vcc_lo
	s_delay_alu instid0(VALU_DEP_2) | instskip(NEXT) | instid1(VALU_DEP_2)
	v_add_co_u32 v14, vcc_lo, v15, v14
	v_add_co_ci_u32_e32 v14, vcc_lo, v16, v28, vcc_lo
	v_add_co_ci_u32_e32 v15, vcc_lo, 0, v29, vcc_lo
	v_add_co_u32 v10, vcc_lo, v10, v27
	v_add_co_ci_u32_e32 v11, vcc_lo, v11, v27, vcc_lo
	s_delay_alu instid0(VALU_DEP_4) | instskip(NEXT) | instid1(VALU_DEP_4)
	v_add_co_u32 v13, vcc_lo, v14, v13
	v_add_co_ci_u32_e32 v14, vcc_lo, 0, v15, vcc_lo
	s_delay_alu instid0(VALU_DEP_4) | instskip(NEXT) | instid1(VALU_DEP_3)
	v_xor_b32_e32 v15, v10, v27
	v_add_co_u32 v13, vcc_lo, v8, v13
	s_delay_alu instid0(VALU_DEP_3) | instskip(SKIP_1) | instid1(VALU_DEP_3)
	v_add_co_ci_u32_e32 v16, vcc_lo, v9, v14, vcc_lo
	v_xor_b32_e32 v17, v11, v27
	v_mul_hi_u32 v28, v15, v13
	s_delay_alu instid0(VALU_DEP_3) | instskip(NEXT) | instid1(VALU_DEP_3)
	v_mad_u64_u32 v[8:9], null, v15, v16, 0
	v_mad_u64_u32 v[10:11], null, v17, v13, 0
	;; [unrolled: 1-line block ×3, first 2 shown]
	s_delay_alu instid0(VALU_DEP_3) | instskip(NEXT) | instid1(VALU_DEP_4)
	v_add_co_u32 v8, vcc_lo, v28, v8
	v_add_co_ci_u32_e32 v9, vcc_lo, 0, v9, vcc_lo
	s_delay_alu instid0(VALU_DEP_2) | instskip(NEXT) | instid1(VALU_DEP_2)
	v_add_co_u32 v8, vcc_lo, v8, v10
	v_add_co_ci_u32_e32 v8, vcc_lo, v9, v11, vcc_lo
	v_add_co_ci_u32_e32 v9, vcc_lo, 0, v14, vcc_lo
	s_delay_alu instid0(VALU_DEP_2) | instskip(NEXT) | instid1(VALU_DEP_2)
	v_add_co_u32 v10, vcc_lo, v8, v13
	v_add_co_ci_u32_e32 v11, vcc_lo, 0, v9, vcc_lo
	s_delay_alu instid0(VALU_DEP_2) | instskip(SKIP_1) | instid1(VALU_DEP_3)
	v_mul_lo_u32 v13, s15, v10
	v_mad_u64_u32 v[8:9], null, s14, v10, 0
	v_mul_lo_u32 v14, s14, v11
	s_delay_alu instid0(VALU_DEP_2) | instskip(NEXT) | instid1(VALU_DEP_2)
	v_sub_co_u32 v8, vcc_lo, v15, v8
	v_add3_u32 v9, v9, v14, v13
	s_delay_alu instid0(VALU_DEP_1) | instskip(NEXT) | instid1(VALU_DEP_1)
	v_sub_nc_u32_e32 v13, v17, v9
	v_subrev_co_ci_u32_e64 v13, s3, s15, v13, vcc_lo
	v_add_co_u32 v14, s3, v10, 2
	s_delay_alu instid0(VALU_DEP_1) | instskip(SKIP_3) | instid1(VALU_DEP_3)
	v_add_co_ci_u32_e64 v15, s3, 0, v11, s3
	v_sub_co_u32 v16, s3, v8, s14
	v_sub_co_ci_u32_e32 v9, vcc_lo, v17, v9, vcc_lo
	v_subrev_co_ci_u32_e64 v13, s3, 0, v13, s3
	v_cmp_le_u32_e32 vcc_lo, s14, v16
	s_delay_alu instid0(VALU_DEP_3) | instskip(SKIP_1) | instid1(VALU_DEP_4)
	v_cmp_eq_u32_e64 s3, s15, v9
	v_cndmask_b32_e64 v16, 0, -1, vcc_lo
	v_cmp_le_u32_e32 vcc_lo, s15, v13
	v_cndmask_b32_e64 v17, 0, -1, vcc_lo
	v_cmp_le_u32_e32 vcc_lo, s14, v8
	;; [unrolled: 2-line block ×3, first 2 shown]
	v_cndmask_b32_e64 v28, 0, -1, vcc_lo
	v_cmp_eq_u32_e32 vcc_lo, s15, v13
	s_delay_alu instid0(VALU_DEP_2) | instskip(SKIP_3) | instid1(VALU_DEP_3)
	v_cndmask_b32_e64 v8, v28, v8, s3
	v_cndmask_b32_e32 v13, v17, v16, vcc_lo
	v_add_co_u32 v16, vcc_lo, v10, 1
	v_add_co_ci_u32_e32 v17, vcc_lo, 0, v11, vcc_lo
	v_cmp_ne_u32_e32 vcc_lo, 0, v13
	s_delay_alu instid0(VALU_DEP_2) | instskip(NEXT) | instid1(VALU_DEP_4)
	v_cndmask_b32_e32 v9, v17, v15, vcc_lo
	v_cndmask_b32_e32 v13, v16, v14, vcc_lo
	v_cmp_ne_u32_e32 vcc_lo, 0, v8
	v_xor_b32_e32 v8, s4, v27
	s_delay_alu instid0(VALU_DEP_3) | instskip(SKIP_2) | instid1(VALU_DEP_3)
	v_cndmask_b32_e32 v10, v10, v13, vcc_lo
	v_cndmask_b32_e32 v9, v11, v9, vcc_lo
	v_xor_b32_e32 v11, s5, v27
	v_xor_b32_e32 v10, v10, v8
	s_delay_alu instid0(VALU_DEP_2) | instskip(NEXT) | instid1(VALU_DEP_2)
	v_xor_b32_e32 v9, v9, v11
	v_sub_co_u32 v8, vcc_lo, v10, v8
	s_delay_alu instid0(VALU_DEP_2)
	v_sub_co_ci_u32_e32 v9, vcc_lo, v9, v11, vcc_lo
                                        ; implicit-def: $vgpr10_vgpr11
.LBB0_33:                               ;   in Loop: Header=BB0_27 Depth=2
	s_and_not1_saveexec_b32 s3, s42
	s_cbranch_execz .LBB0_35
; %bb.34:                               ;   in Loop: Header=BB0_27 Depth=2
	v_rcp_iflag_f32_e32 v8, v12
	s_sub_i32 s4, 0, s34
	s_waitcnt_depctr 0xfff
	v_mul_f32_e32 v8, 0x4f7ffffe, v8
	s_delay_alu instid0(VALU_DEP_1) | instskip(NEXT) | instid1(VALU_DEP_1)
	v_cvt_u32_f32_e32 v8, v8
	v_mul_lo_u32 v9, s4, v8
	s_delay_alu instid0(VALU_DEP_1) | instskip(NEXT) | instid1(VALU_DEP_1)
	v_mul_hi_u32 v9, v8, v9
	v_add_nc_u32_e32 v8, v8, v9
	s_delay_alu instid0(VALU_DEP_1) | instskip(NEXT) | instid1(VALU_DEP_1)
	v_mul_hi_u32 v8, v10, v8
	v_mul_lo_u32 v9, v8, s34
	s_delay_alu instid0(VALU_DEP_1) | instskip(SKIP_1) | instid1(VALU_DEP_2)
	v_sub_nc_u32_e32 v9, v10, v9
	v_add_nc_u32_e32 v10, 1, v8
	v_subrev_nc_u32_e32 v11, s34, v9
	v_cmp_le_u32_e32 vcc_lo, s34, v9
	s_delay_alu instid0(VALU_DEP_2) | instskip(NEXT) | instid1(VALU_DEP_1)
	v_dual_cndmask_b32 v9, v9, v11 :: v_dual_cndmask_b32 v8, v8, v10
	v_cmp_le_u32_e32 vcc_lo, s34, v9
	s_delay_alu instid0(VALU_DEP_2) | instskip(NEXT) | instid1(VALU_DEP_1)
	v_dual_mov_b32 v9, v3 :: v_dual_add_nc_u32 v10, 1, v8
	v_cndmask_b32_e32 v8, v8, v10, vcc_lo
.LBB0_35:                               ;   in Loop: Header=BB0_27 Depth=2
	s_or_b32 exec_lo, exec_lo, s3
	v_add_co_u32 v13, s3, v2, 1
	s_delay_alu instid0(VALU_DEP_1) | instskip(NEXT) | instid1(VALU_DEP_2)
	v_add_co_ci_u32_e64 v10, null, 0, 0, s3
	v_mul_lo_u32 v14, v13, s26
	s_delay_alu instid0(VALU_DEP_2) | instskip(SKIP_2) | instid1(VALU_DEP_2)
	v_mul_lo_u32 v15, v10, s18
	v_mad_u64_u32 v[10:11], null, v13, s18, -1
	v_mov_b32_e32 v13, v3
	v_add3_u32 v11, v15, v11, v14
	s_delay_alu instid0(VALU_DEP_1) | instskip(NEXT) | instid1(VALU_DEP_1)
	v_or_b32_e32 v14, s23, v11
	v_cmp_ne_u64_e32 vcc_lo, 0, v[13:14]
                                        ; implicit-def: $vgpr13_vgpr14
	s_and_saveexec_b32 s3, vcc_lo
	s_delay_alu instid0(SALU_CYCLE_1)
	s_xor_b32 s42, exec_lo, s3
	s_cbranch_execz .LBB0_37
; %bb.36:                               ;   in Loop: Header=BB0_27 Depth=2
	s_add_u32 s14, s34, s23
	s_mov_b32 s4, s23
	s_mov_b32 s5, s23
	s_addc_u32 s15, s23, s23
	s_delay_alu instid0(SALU_CYCLE_1) | instskip(NEXT) | instid1(SALU_CYCLE_1)
	s_xor_b64 s[14:15], s[14:15], s[4:5]
	v_cvt_f32_u32_e32 v12, s14
	v_cvt_f32_u32_e32 v13, s15
	s_sub_u32 s3, 0, s14
	s_subb_u32 s5, 0, s15
	s_delay_alu instid0(VALU_DEP_1) | instskip(NEXT) | instid1(VALU_DEP_1)
	v_fmac_f32_e32 v12, 0x4f800000, v13
	v_rcp_f32_e32 v12, v12
	s_waitcnt_depctr 0xfff
	v_mul_f32_e32 v12, 0x5f7ffffc, v12
	s_delay_alu instid0(VALU_DEP_1) | instskip(NEXT) | instid1(VALU_DEP_1)
	v_mul_f32_e32 v13, 0x2f800000, v12
	v_trunc_f32_e32 v13, v13
	s_delay_alu instid0(VALU_DEP_1) | instskip(SKIP_1) | instid1(VALU_DEP_2)
	v_fmac_f32_e32 v12, 0xcf800000, v13
	v_cvt_u32_f32_e32 v13, v13
	v_cvt_u32_f32_e32 v12, v12
	s_delay_alu instid0(VALU_DEP_2) | instskip(NEXT) | instid1(VALU_DEP_2)
	v_mul_lo_u32 v14, s3, v13
	v_mul_hi_u32 v15, s3, v12
	v_mul_lo_u32 v16, s5, v12
	s_delay_alu instid0(VALU_DEP_2) | instskip(SKIP_1) | instid1(VALU_DEP_2)
	v_add_nc_u32_e32 v14, v15, v14
	v_mul_lo_u32 v15, s3, v12
	v_add_nc_u32_e32 v14, v14, v16
	s_delay_alu instid0(VALU_DEP_2) | instskip(NEXT) | instid1(VALU_DEP_2)
	v_mul_hi_u32 v16, v12, v15
	v_mul_lo_u32 v17, v12, v14
	v_mul_hi_u32 v27, v12, v14
	v_mul_hi_u32 v28, v13, v15
	v_mul_lo_u32 v15, v13, v15
	v_mul_hi_u32 v29, v13, v14
	v_mul_lo_u32 v14, v13, v14
	v_add_co_u32 v16, vcc_lo, v16, v17
	v_add_co_ci_u32_e32 v17, vcc_lo, 0, v27, vcc_lo
	s_delay_alu instid0(VALU_DEP_2) | instskip(NEXT) | instid1(VALU_DEP_2)
	v_add_co_u32 v15, vcc_lo, v16, v15
	v_add_co_ci_u32_e32 v15, vcc_lo, v17, v28, vcc_lo
	v_add_co_ci_u32_e32 v16, vcc_lo, 0, v29, vcc_lo
	v_ashrrev_i32_e32 v28, 31, v11
	s_delay_alu instid0(VALU_DEP_3) | instskip(NEXT) | instid1(VALU_DEP_3)
	v_add_co_u32 v14, vcc_lo, v15, v14
	v_add_co_ci_u32_e32 v15, vcc_lo, 0, v16, vcc_lo
	s_delay_alu instid0(VALU_DEP_2) | instskip(NEXT) | instid1(VALU_DEP_2)
	v_add_co_u32 v12, vcc_lo, v12, v14
	v_add_co_ci_u32_e32 v13, vcc_lo, v13, v15, vcc_lo
	s_delay_alu instid0(VALU_DEP_2) | instskip(SKIP_1) | instid1(VALU_DEP_3)
	v_mul_hi_u32 v14, s3, v12
	v_mul_lo_u32 v16, s5, v12
	v_mul_lo_u32 v15, s3, v13
	s_delay_alu instid0(VALU_DEP_1) | instskip(SKIP_1) | instid1(VALU_DEP_2)
	v_add_nc_u32_e32 v14, v14, v15
	v_mul_lo_u32 v15, s3, v12
	v_add_nc_u32_e32 v14, v14, v16
	s_delay_alu instid0(VALU_DEP_2) | instskip(NEXT) | instid1(VALU_DEP_2)
	v_mul_hi_u32 v16, v12, v15
	v_mul_lo_u32 v17, v12, v14
	v_mul_hi_u32 v27, v12, v14
	v_mul_hi_u32 v29, v13, v15
	v_mul_lo_u32 v15, v13, v15
	v_mul_hi_u32 v30, v13, v14
	v_mul_lo_u32 v14, v13, v14
	v_add_co_u32 v16, vcc_lo, v16, v17
	v_add_co_ci_u32_e32 v17, vcc_lo, 0, v27, vcc_lo
	s_delay_alu instid0(VALU_DEP_2) | instskip(NEXT) | instid1(VALU_DEP_2)
	v_add_co_u32 v15, vcc_lo, v16, v15
	v_add_co_ci_u32_e32 v15, vcc_lo, v17, v29, vcc_lo
	v_add_co_ci_u32_e32 v16, vcc_lo, 0, v30, vcc_lo
	v_add_co_u32 v10, vcc_lo, v10, v28
	v_add_co_ci_u32_e32 v11, vcc_lo, v11, v28, vcc_lo
	s_delay_alu instid0(VALU_DEP_4) | instskip(NEXT) | instid1(VALU_DEP_4)
	v_add_co_u32 v14, vcc_lo, v15, v14
	v_add_co_ci_u32_e32 v15, vcc_lo, 0, v16, vcc_lo
	s_delay_alu instid0(VALU_DEP_4) | instskip(NEXT) | instid1(VALU_DEP_3)
	v_xor_b32_e32 v16, v10, v28
	v_add_co_u32 v14, vcc_lo, v12, v14
	s_delay_alu instid0(VALU_DEP_3) | instskip(SKIP_1) | instid1(VALU_DEP_3)
	v_add_co_ci_u32_e32 v17, vcc_lo, v13, v15, vcc_lo
	v_xor_b32_e32 v27, v11, v28
	v_mul_hi_u32 v29, v16, v14
	s_delay_alu instid0(VALU_DEP_3) | instskip(NEXT) | instid1(VALU_DEP_3)
	v_mad_u64_u32 v[10:11], null, v16, v17, 0
	v_mad_u64_u32 v[12:13], null, v27, v14, 0
	;; [unrolled: 1-line block ×3, first 2 shown]
	s_delay_alu instid0(VALU_DEP_3) | instskip(NEXT) | instid1(VALU_DEP_4)
	v_add_co_u32 v10, vcc_lo, v29, v10
	v_add_co_ci_u32_e32 v11, vcc_lo, 0, v11, vcc_lo
	s_delay_alu instid0(VALU_DEP_2) | instskip(NEXT) | instid1(VALU_DEP_2)
	v_add_co_u32 v10, vcc_lo, v10, v12
	v_add_co_ci_u32_e32 v10, vcc_lo, v11, v13, vcc_lo
	v_add_co_ci_u32_e32 v11, vcc_lo, 0, v15, vcc_lo
	s_delay_alu instid0(VALU_DEP_2) | instskip(NEXT) | instid1(VALU_DEP_2)
	v_add_co_u32 v12, vcc_lo, v10, v14
	v_add_co_ci_u32_e32 v13, vcc_lo, 0, v11, vcc_lo
	s_delay_alu instid0(VALU_DEP_2) | instskip(SKIP_1) | instid1(VALU_DEP_3)
	v_mul_lo_u32 v14, s15, v12
	v_mad_u64_u32 v[10:11], null, s14, v12, 0
	v_mul_lo_u32 v13, s14, v13
	s_delay_alu instid0(VALU_DEP_2) | instskip(NEXT) | instid1(VALU_DEP_2)
	v_sub_co_u32 v10, vcc_lo, v16, v10
	v_add3_u32 v11, v11, v13, v14
	v_add_co_u32 v14, s3, v12, 2
	s_delay_alu instid0(VALU_DEP_2) | instskip(NEXT) | instid1(VALU_DEP_1)
	v_sub_nc_u32_e32 v13, v27, v11
	v_subrev_co_ci_u32_e64 v13, s3, s15, v13, vcc_lo
	v_sub_co_u32 v15, s3, v10, s14
	v_sub_co_ci_u32_e32 v11, vcc_lo, v27, v11, vcc_lo
	s_delay_alu instid0(VALU_DEP_3) | instskip(NEXT) | instid1(VALU_DEP_3)
	v_subrev_co_ci_u32_e64 v13, s3, 0, v13, s3
	v_cmp_le_u32_e32 vcc_lo, s14, v15
	v_cndmask_b32_e64 v15, 0, -1, vcc_lo
	s_delay_alu instid0(VALU_DEP_3)
	v_cmp_le_u32_e32 vcc_lo, s15, v13
	v_cndmask_b32_e64 v16, 0, -1, vcc_lo
	v_cmp_le_u32_e32 vcc_lo, s14, v10
	v_cndmask_b32_e64 v10, 0, -1, vcc_lo
	;; [unrolled: 2-line block ×3, first 2 shown]
	v_cmp_eq_u32_e32 vcc_lo, s15, v13
	v_cndmask_b32_e32 v13, v16, v15, vcc_lo
	v_add_co_u32 v15, vcc_lo, v12, 1
	v_cmp_eq_u32_e32 vcc_lo, s15, v11
	v_cndmask_b32_e32 v10, v17, v10, vcc_lo
	s_delay_alu instid0(VALU_DEP_4) | instskip(NEXT) | instid1(VALU_DEP_4)
	v_cmp_ne_u32_e32 vcc_lo, 0, v13
	v_cndmask_b32_e32 v11, v15, v14, vcc_lo
	s_delay_alu instid0(VALU_DEP_3) | instskip(NEXT) | instid1(VALU_DEP_2)
	v_cmp_ne_u32_e32 vcc_lo, 0, v10
	v_cndmask_b32_e32 v10, v12, v11, vcc_lo
	v_xor_b32_e32 v11, s4, v28
                                        ; implicit-def: $vgpr12
	s_delay_alu instid0(VALU_DEP_1) | instskip(NEXT) | instid1(VALU_DEP_1)
	v_xor_b32_e32 v10, v10, v11
	v_sub_co_u32 v13, vcc_lo, v10, v11
                                        ; implicit-def: $vgpr10_vgpr11
.LBB0_37:                               ;   in Loop: Header=BB0_27 Depth=2
	s_and_not1_saveexec_b32 s3, s42
	s_cbranch_execz .LBB0_39
; %bb.38:                               ;   in Loop: Header=BB0_27 Depth=2
	v_rcp_iflag_f32_e32 v11, v12
	s_sub_i32 s4, 0, s34
	s_waitcnt_depctr 0xfff
	v_mul_f32_e32 v11, 0x4f7ffffe, v11
	s_delay_alu instid0(VALU_DEP_1) | instskip(NEXT) | instid1(VALU_DEP_1)
	v_cvt_u32_f32_e32 v11, v11
	v_mul_lo_u32 v12, s4, v11
	s_delay_alu instid0(VALU_DEP_1) | instskip(NEXT) | instid1(VALU_DEP_1)
	v_mul_hi_u32 v12, v11, v12
	v_add_nc_u32_e32 v11, v11, v12
	s_delay_alu instid0(VALU_DEP_1) | instskip(NEXT) | instid1(VALU_DEP_1)
	v_mul_hi_u32 v11, v10, v11
	v_mul_lo_u32 v12, v11, s34
	s_delay_alu instid0(VALU_DEP_1) | instskip(SKIP_1) | instid1(VALU_DEP_2)
	v_sub_nc_u32_e32 v10, v10, v12
	v_add_nc_u32_e32 v12, 1, v11
	v_subrev_nc_u32_e32 v13, s34, v10
	v_cmp_le_u32_e32 vcc_lo, s34, v10
	s_delay_alu instid0(VALU_DEP_2) | instskip(NEXT) | instid1(VALU_DEP_1)
	v_dual_cndmask_b32 v10, v10, v13 :: v_dual_cndmask_b32 v11, v11, v12
	v_cmp_le_u32_e32 vcc_lo, s34, v10
	s_delay_alu instid0(VALU_DEP_2) | instskip(NEXT) | instid1(VALU_DEP_1)
	v_add_nc_u32_e32 v12, 1, v11
	v_cndmask_b32_e32 v13, v11, v12, vcc_lo
.LBB0_39:                               ;   in Loop: Header=BB0_27 Depth=2
	s_or_b32 exec_lo, exec_lo, s3
	v_mad_u64_u32 v[15:16], null, v7, s18, v[8:9]
	v_mov_b32_e32 v11, 0
	s_and_not1_b32 vcc_lo, exec_lo, s1
	s_delay_alu instid0(VALU_DEP_2) | instskip(NEXT) | instid1(VALU_DEP_1)
	v_dual_mov_b32 v12, 0xfff00000 :: v_dual_add_nc_u32 v9, v26, v15
	v_ashrrev_i32_e32 v10, 31, v9
	s_cbranch_vccnz .LBB0_26
; %bb.40:                               ;   in Loop: Header=BB0_27 Depth=2
	v_ashrrev_i32_e32 v11, 31, v15
	v_sub_nc_u32_e32 v12, v13, v15
	v_mad_u64_u32 v[13:14], null, s10, v15, v[4:5]
	v_mul_lo_u32 v17, s11, v15
	s_delay_alu instid0(VALU_DEP_4)
	v_mul_lo_u32 v28, s10, v11
	v_add_nc_u32_e32 v7, v6, v7
	v_add_nc_u32_e32 v27, 1, v12
	v_mov_b32_e32 v11, 0
	v_mov_b32_e32 v12, 0xfff00000
	s_mov_b32 s14, 0
	v_mad_u64_u32 v[15:16], null, s18, v7, v[8:9]
	v_cmp_lt_i32_e64 s3, 0, v27
	v_add3_u32 v14, v17, v14, v28
	s_branch .LBB0_43
.LBB0_41:                               ;   in Loop: Header=BB0_43 Depth=3
	s_set_inst_prefetch_distance 0x2
	s_or_b32 exec_lo, exec_lo, s42
.LBB0_42:                               ;   in Loop: Header=BB0_43 Depth=3
	s_delay_alu instid0(SALU_CYCLE_1)
	s_or_b32 exec_lo, exec_lo, s15
	s_add_i32 s14, s14, 1
	v_add_co_u32 v13, s4, v13, s6
	v_cmp_ne_u32_e32 vcc_lo, s14, v18
	v_add_co_ci_u32_e64 v14, s4, s7, v14, s4
	v_add_nc_u32_e32 v15, s38, v15
	s_cbranch_vccz .LBB0_26
.LBB0_43:                               ;   Parent Loop BB0_12 Depth=1
                                        ;     Parent Loop BB0_27 Depth=2
                                        ; =>    This Loop Header: Depth=3
                                        ;         Child Loop BB0_46 Depth 4
                                        ;           Child Loop BB0_48 Depth 5
	s_and_saveexec_b32 s15, s2
	s_cbranch_execz .LBB0_42
; %bb.44:                               ;   in Loop: Header=BB0_43 Depth=3
	s_delay_alu instid0(VALU_DEP_1)
	v_dual_mov_b32 v28, v15 :: v_dual_mov_b32 v7, v13
	v_mov_b32_e32 v8, v14
	s_mov_b32 s42, 0
	s_mov_b32 s43, 0
	s_set_inst_prefetch_distance 0x1
	s_branch .LBB0_46
	.p2align	6
.LBB0_45:                               ;   in Loop: Header=BB0_46 Depth=4
	s_or_b32 exec_lo, exec_lo, s44
	s_add_i32 s43, s43, 1
	v_add_co_u32 v7, s4, v7, s8
	v_cmp_ge_i32_e32 vcc_lo, s43, v21
	v_add_co_ci_u32_e64 v8, s4, s9, v8, s4
	v_add_nc_u32_e32 v28, s18, v28
	s_or_b32 s42, vcc_lo, s42
	s_delay_alu instid0(SALU_CYCLE_1)
	s_and_not1_b32 exec_lo, exec_lo, s42
	s_cbranch_execz .LBB0_41
.LBB0_46:                               ;   Parent Loop BB0_12 Depth=1
                                        ;     Parent Loop BB0_27 Depth=2
                                        ;       Parent Loop BB0_43 Depth=3
                                        ; =>      This Loop Header: Depth=4
                                        ;           Child Loop BB0_48 Depth 5
	s_and_saveexec_b32 s44, s3
	s_cbranch_execz .LBB0_45
; %bb.47:                               ;   in Loop: Header=BB0_46 Depth=4
	v_dual_mov_b32 v17, v8 :: v_dual_mov_b32 v16, v7
	s_mov_b32 s45, 0
	s_mov_b32 s46, 0
	.p2align	6
.LBB0_48:                               ;   Parent Loop BB0_12 Depth=1
                                        ;     Parent Loop BB0_27 Depth=2
                                        ;       Parent Loop BB0_43 Depth=3
                                        ;         Parent Loop BB0_46 Depth=4
                                        ; =>        This Inner Loop Header: Depth=5
	global_load_b64 v[29:30], v[16:17], off
	v_add_co_u32 v16, s5, v16, s10
	s_delay_alu instid0(VALU_DEP_1) | instskip(SKIP_3) | instid1(VALU_DEP_1)
	v_add_co_ci_u32_e64 v17, s5, s11, v17, s5
	s_waitcnt vmcnt(0)
	v_cmp_gt_f64_e32 vcc_lo, v[29:30], v[11:12]
	v_cmp_u_f64_e64 s4, v[29:30], v[29:30]
	s_or_b32 vcc_lo, vcc_lo, s4
	v_dual_cndmask_b32 v12, v12, v30 :: v_dual_add_nc_u32 v31, s46, v28
	s_add_i32 s46, s46, 1
	v_cndmask_b32_e32 v11, v11, v29, vcc_lo
	v_cmp_ge_i32_e64 s5, s46, v27
	s_delay_alu instid0(VALU_DEP_3) | instskip(SKIP_1) | instid1(VALU_DEP_3)
	v_ashrrev_i32_e32 v32, 31, v31
	v_cndmask_b32_e32 v9, v9, v31, vcc_lo
	s_or_b32 s45, s5, s45
	s_delay_alu instid0(VALU_DEP_2)
	v_cndmask_b32_e32 v10, v10, v32, vcc_lo
	s_and_not1_b32 exec_lo, exec_lo, s45
	s_cbranch_execnz .LBB0_48
; %bb.49:                               ;   in Loop: Header=BB0_46 Depth=4
	s_or_b32 exec_lo, exec_lo, s45
	s_branch .LBB0_45
.LBB0_50:
	s_nop 0
	s_sendmsg sendmsg(MSG_DEALLOC_VGPRS)
	s_endpgm
.LBB0_51:
                                        ; implicit-def: $sgpr26_sgpr27
	s_branch .LBB0_2
.LBB0_52:
                                        ; implicit-def: $sgpr22_sgpr23
	s_load_b32 s33, s[0:1], 0x64
	s_branch .LBB0_5
.LBB0_53:
                                        ; implicit-def: $vgpr2_vgpr3
	s_load_b32 s2, s[0:1], 0x5c
	s_branch .LBB0_9
	.section	.rodata,"a",@progbits
	.p2align	6, 0x0
	.amdhsa_kernel _ZN2at6native12_GLOBAL__N_115adaptivemaxpoolIdEEvPKT_PS3_Pliiiiiilllll
		.amdhsa_group_segment_fixed_size 0
		.amdhsa_private_segment_fixed_size 0
		.amdhsa_kernarg_size 344
		.amdhsa_user_sgpr_count 14
		.amdhsa_user_sgpr_dispatch_ptr 0
		.amdhsa_user_sgpr_queue_ptr 0
		.amdhsa_user_sgpr_kernarg_segment_ptr 1
		.amdhsa_user_sgpr_dispatch_id 0
		.amdhsa_user_sgpr_private_segment_size 0
		.amdhsa_wavefront_size32 1
		.amdhsa_uses_dynamic_stack 0
		.amdhsa_enable_private_segment 0
		.amdhsa_system_sgpr_workgroup_id_x 1
		.amdhsa_system_sgpr_workgroup_id_y 1
		.amdhsa_system_sgpr_workgroup_id_z 0
		.amdhsa_system_sgpr_workgroup_info 0
		.amdhsa_system_vgpr_workitem_id 1
		.amdhsa_next_free_vgpr 33
		.amdhsa_next_free_sgpr 47
		.amdhsa_reserve_vcc 1
		.amdhsa_float_round_mode_32 0
		.amdhsa_float_round_mode_16_64 0
		.amdhsa_float_denorm_mode_32 3
		.amdhsa_float_denorm_mode_16_64 3
		.amdhsa_dx10_clamp 1
		.amdhsa_ieee_mode 1
		.amdhsa_fp16_overflow 0
		.amdhsa_workgroup_processor_mode 1
		.amdhsa_memory_ordered 1
		.amdhsa_forward_progress 0
		.amdhsa_shared_vgpr_count 0
		.amdhsa_exception_fp_ieee_invalid_op 0
		.amdhsa_exception_fp_denorm_src 0
		.amdhsa_exception_fp_ieee_div_zero 0
		.amdhsa_exception_fp_ieee_overflow 0
		.amdhsa_exception_fp_ieee_underflow 0
		.amdhsa_exception_fp_ieee_inexact 0
		.amdhsa_exception_int_div_zero 0
	.end_amdhsa_kernel
	.section	.text._ZN2at6native12_GLOBAL__N_115adaptivemaxpoolIdEEvPKT_PS3_Pliiiiiilllll,"axG",@progbits,_ZN2at6native12_GLOBAL__N_115adaptivemaxpoolIdEEvPKT_PS3_Pliiiiiilllll,comdat
.Lfunc_end0:
	.size	_ZN2at6native12_GLOBAL__N_115adaptivemaxpoolIdEEvPKT_PS3_Pliiiiiilllll, .Lfunc_end0-_ZN2at6native12_GLOBAL__N_115adaptivemaxpoolIdEEvPKT_PS3_Pliiiiiilllll
                                        ; -- End function
	.section	.AMDGPU.csdata,"",@progbits
; Kernel info:
; codeLenInByte = 8904
; NumSgprs: 49
; NumVgprs: 33
; ScratchSize: 0
; MemoryBound: 0
; FloatMode: 240
; IeeeMode: 1
; LDSByteSize: 0 bytes/workgroup (compile time only)
; SGPRBlocks: 6
; VGPRBlocks: 4
; NumSGPRsForWavesPerEU: 49
; NumVGPRsForWavesPerEU: 33
; Occupancy: 16
; WaveLimiterHint : 0
; COMPUTE_PGM_RSRC2:SCRATCH_EN: 0
; COMPUTE_PGM_RSRC2:USER_SGPR: 14
; COMPUTE_PGM_RSRC2:TRAP_HANDLER: 0
; COMPUTE_PGM_RSRC2:TGID_X_EN: 1
; COMPUTE_PGM_RSRC2:TGID_Y_EN: 1
; COMPUTE_PGM_RSRC2:TGID_Z_EN: 0
; COMPUTE_PGM_RSRC2:TIDIG_COMP_CNT: 1
	.section	.text._ZN2at6native12_GLOBAL__N_115adaptivemaxpoolIfEEvPKT_PS3_Pliiiiiilllll,"axG",@progbits,_ZN2at6native12_GLOBAL__N_115adaptivemaxpoolIfEEvPKT_PS3_Pliiiiiilllll,comdat
	.globl	_ZN2at6native12_GLOBAL__N_115adaptivemaxpoolIfEEvPKT_PS3_Pliiiiiilllll ; -- Begin function _ZN2at6native12_GLOBAL__N_115adaptivemaxpoolIfEEvPKT_PS3_Pliiiiiilllll
	.p2align	8
	.type	_ZN2at6native12_GLOBAL__N_115adaptivemaxpoolIfEEvPKT_PS3_Pliiiiiilllll,@function
_ZN2at6native12_GLOBAL__N_115adaptivemaxpoolIfEEvPKT_PS3_Pliiiiiilllll: ; @_ZN2at6native12_GLOBAL__N_115adaptivemaxpoolIfEEvPKT_PS3_Pliiiiiilllll
; %bb.0:
	s_clause 0x2
	s_load_b64 s[2:3], s[0:1], 0x50
	s_load_b128 s[16:19], s[0:1], 0x18
	s_load_b64 s[20:21], s[0:1], 0x28
	s_waitcnt lgkmcnt(0)
	s_add_u32 s24, s14, s2
	s_addc_u32 s25, 0, s3
	s_ashr_i32 s13, s19, 31
	s_mov_b32 s12, s19
	s_delay_alu instid0(SALU_CYCLE_1) | instskip(SKIP_1) | instid1(SALU_CYCLE_1)
	s_or_b64 s[2:3], s[24:25], s[12:13]
	s_mov_b32 s2, 0
	s_cmp_lg_u64 s[2:3], 0
	s_cbranch_scc0 .LBB1_51
; %bb.1:
	s_add_u32 s6, s12, s13
	s_mov_b32 s4, s13
	s_mov_b32 s5, s13
	s_addc_u32 s7, s13, s13
	s_delay_alu instid0(SALU_CYCLE_1) | instskip(NEXT) | instid1(SALU_CYCLE_1)
	s_xor_b64 s[6:7], s[6:7], s[4:5]
	v_cvt_f32_u32_e32 v1, s6
	v_cvt_f32_u32_e32 v2, s7
	s_sub_u32 s9, 0, s6
	s_subb_u32 s10, 0, s7
	s_delay_alu instid0(VALU_DEP_1) | instskip(NEXT) | instid1(VALU_DEP_1)
	v_fmamk_f32 v1, v2, 0x4f800000, v1
	v_rcp_f32_e32 v1, v1
	s_waitcnt_depctr 0xfff
	v_mul_f32_e32 v1, 0x5f7ffffc, v1
	s_delay_alu instid0(VALU_DEP_1) | instskip(NEXT) | instid1(VALU_DEP_1)
	v_mul_f32_e32 v2, 0x2f800000, v1
	v_trunc_f32_e32 v2, v2
	s_delay_alu instid0(VALU_DEP_1) | instskip(SKIP_1) | instid1(VALU_DEP_2)
	v_fmamk_f32 v1, v2, 0xcf800000, v1
	v_cvt_u32_f32_e32 v2, v2
	v_cvt_u32_f32_e32 v1, v1
	s_delay_alu instid0(VALU_DEP_2) | instskip(NEXT) | instid1(VALU_DEP_2)
	v_readfirstlane_b32 s3, v2
	v_readfirstlane_b32 s8, v1
	s_delay_alu instid0(VALU_DEP_2) | instskip(NEXT) | instid1(VALU_DEP_1)
	s_mul_i32 s11, s9, s3
	s_mul_hi_u32 s19, s9, s8
	s_mul_i32 s14, s10, s8
	s_add_i32 s11, s19, s11
	s_mul_i32 s22, s9, s8
	s_add_i32 s11, s11, s14
	s_mul_hi_u32 s19, s8, s22
	s_mul_hi_u32 s23, s3, s22
	s_mul_i32 s14, s3, s22
	s_mul_hi_u32 s22, s8, s11
	s_mul_i32 s8, s8, s11
	s_mul_hi_u32 s26, s3, s11
	s_add_u32 s8, s19, s8
	s_addc_u32 s19, 0, s22
	s_add_u32 s8, s8, s14
	s_mul_i32 s11, s3, s11
	s_addc_u32 s8, s19, s23
	s_addc_u32 s14, s26, 0
	s_add_u32 s8, s8, s11
	s_addc_u32 s11, 0, s14
	v_add_co_u32 v1, s8, v1, s8
	s_delay_alu instid0(VALU_DEP_1) | instskip(SKIP_1) | instid1(VALU_DEP_1)
	s_cmp_lg_u32 s8, 0
	s_addc_u32 s3, s3, s11
	v_readfirstlane_b32 s8, v1
	s_mul_i32 s11, s9, s3
	s_delay_alu instid0(VALU_DEP_1)
	s_mul_hi_u32 s14, s9, s8
	s_mul_i32 s10, s10, s8
	s_add_i32 s11, s14, s11
	s_mul_i32 s9, s9, s8
	s_add_i32 s11, s11, s10
	s_mul_hi_u32 s14, s3, s9
	s_mul_i32 s19, s3, s9
	s_mul_hi_u32 s9, s8, s9
	s_mul_hi_u32 s22, s8, s11
	s_mul_i32 s8, s8, s11
	s_mul_hi_u32 s10, s3, s11
	s_add_u32 s8, s9, s8
	s_addc_u32 s9, 0, s22
	s_add_u32 s8, s8, s19
	s_mul_i32 s11, s3, s11
	s_addc_u32 s8, s9, s14
	s_addc_u32 s9, s10, 0
	s_add_u32 s8, s8, s11
	s_addc_u32 s9, 0, s9
	v_add_co_u32 v1, s8, v1, s8
	s_delay_alu instid0(VALU_DEP_1) | instskip(SKIP_2) | instid1(VALU_DEP_1)
	s_cmp_lg_u32 s8, 0
	s_addc_u32 s3, s3, s9
	s_ashr_i32 s8, s25, 31
	v_readfirstlane_b32 s14, v1
	s_add_u32 s10, s24, s8
	s_mov_b32 s9, s8
	s_addc_u32 s11, s25, s8
	s_delay_alu instid0(SALU_CYCLE_1) | instskip(NEXT) | instid1(SALU_CYCLE_1)
	s_xor_b64 s[10:11], s[10:11], s[8:9]
	s_mul_i32 s22, s10, s3
	s_mul_hi_u32 s23, s10, s14
	s_mul_hi_u32 s19, s10, s3
	;; [unrolled: 1-line block ×3, first 2 shown]
	s_mul_i32 s14, s11, s14
	s_add_u32 s22, s23, s22
	s_addc_u32 s19, 0, s19
	s_mul_hi_u32 s26, s11, s3
	s_add_u32 s14, s22, s14
	s_mul_i32 s3, s11, s3
	s_addc_u32 s14, s19, s27
	s_addc_u32 s19, s26, 0
	s_add_u32 s3, s14, s3
	s_addc_u32 s14, 0, s19
	s_mul_i32 s26, s6, s3
	s_mul_hi_u32 s19, s6, s3
	s_mul_i32 s23, s6, s14
	v_sub_co_u32 v1, s10, s10, s26
	s_mul_i32 s22, s7, s3
	s_add_i32 s19, s19, s23
	s_delay_alu instid0(SALU_CYCLE_1) | instskip(NEXT) | instid1(VALU_DEP_1)
	s_add_i32 s19, s19, s22
	v_sub_co_u32 v2, s23, v1, s6
	s_sub_i32 s22, s11, s19
	s_cmp_lg_u32 s10, 0
	s_subb_u32 s22, s22, s7
	s_cmp_lg_u32 s23, 0
	v_readfirstlane_b32 s23, v2
	s_subb_u32 s22, s22, 0
	s_delay_alu instid0(SALU_CYCLE_1) | instskip(SKIP_1) | instid1(VALU_DEP_1)
	s_cmp_ge_u32 s22, s7
	s_cselect_b32 s26, -1, 0
	s_cmp_ge_u32 s23, s6
	s_cselect_b32 s23, -1, 0
	s_cmp_eq_u32 s22, s7
	s_cselect_b32 s22, s23, s26
	s_add_u32 s23, s3, 1
	s_addc_u32 s26, s14, 0
	s_add_u32 s27, s3, 2
	s_addc_u32 s28, s14, 0
	s_cmp_lg_u32 s22, 0
	s_cselect_b32 s22, s27, s23
	s_cselect_b32 s23, s28, s26
	s_cmp_lg_u32 s10, 0
	v_readfirstlane_b32 s10, v1
	s_subb_u32 s11, s11, s19
	s_delay_alu instid0(SALU_CYCLE_1) | instskip(SKIP_1) | instid1(VALU_DEP_1)
	s_cmp_ge_u32 s11, s7
	s_cselect_b32 s19, -1, 0
	s_cmp_ge_u32 s10, s6
	s_cselect_b32 s6, -1, 0
	s_cmp_eq_u32 s11, s7
	s_cselect_b32 s6, s6, s19
	s_delay_alu instid0(SALU_CYCLE_1) | instskip(SKIP_3) | instid1(SALU_CYCLE_1)
	s_cmp_lg_u32 s6, 0
	s_cselect_b32 s7, s23, s14
	s_cselect_b32 s6, s22, s3
	s_xor_b64 s[4:5], s[8:9], s[4:5]
	s_xor_b64 s[6:7], s[6:7], s[4:5]
	s_delay_alu instid0(SALU_CYCLE_1)
	s_sub_u32 s26, s6, s4
	s_subb_u32 s27, s7, s5
	s_and_not1_b32 vcc_lo, exec_lo, s2
	s_cbranch_vccnz .LBB1_3
.LBB1_2:
	v_cvt_f32_u32_e32 v1, s12
	s_sub_i32 s3, 0, s12
	s_mov_b32 s27, 0
	s_delay_alu instid0(VALU_DEP_1) | instskip(SKIP_2) | instid1(VALU_DEP_1)
	v_rcp_iflag_f32_e32 v1, v1
	s_waitcnt_depctr 0xfff
	v_mul_f32_e32 v1, 0x4f7ffffe, v1
	v_cvt_u32_f32_e32 v1, v1
	s_delay_alu instid0(VALU_DEP_1) | instskip(NEXT) | instid1(VALU_DEP_1)
	v_readfirstlane_b32 s2, v1
	s_mul_i32 s3, s3, s2
	s_delay_alu instid0(SALU_CYCLE_1) | instskip(NEXT) | instid1(SALU_CYCLE_1)
	s_mul_hi_u32 s3, s2, s3
	s_add_i32 s2, s2, s3
	s_delay_alu instid0(SALU_CYCLE_1) | instskip(NEXT) | instid1(SALU_CYCLE_1)
	s_mul_hi_u32 s2, s24, s2
	s_mul_i32 s3, s2, s12
	s_add_i32 s4, s2, 1
	s_sub_i32 s3, s24, s3
	s_delay_alu instid0(SALU_CYCLE_1)
	s_sub_i32 s5, s3, s12
	s_cmp_ge_u32 s3, s12
	s_cselect_b32 s2, s4, s2
	s_cselect_b32 s3, s5, s3
	s_add_i32 s4, s2, 1
	s_cmp_ge_u32 s3, s12
	s_cselect_b32 s26, s4, s2
.LBB1_3:
	s_delay_alu instid0(SALU_CYCLE_1) | instskip(SKIP_4) | instid1(SALU_CYCLE_1)
	s_mul_i32 s2, s26, s13
	s_mul_hi_u32 s3, s26, s12
	s_mul_i32 s4, s26, s12
	s_add_i32 s2, s3, s2
	s_mul_i32 s3, s27, s12
	s_add_i32 s2, s2, s3
	s_sub_u32 s4, s24, s4
	s_subb_u32 s2, s25, s2
	s_ashr_i32 s14, s16, 31
	s_mul_hi_u32 s5, s4, s16
	s_mul_i32 s3, s4, s14
	s_mul_i32 s2, s2, s16
	s_add_i32 s3, s5, s3
	s_delay_alu instid0(SALU_CYCLE_1) | instskip(SKIP_1) | instid1(SALU_CYCLE_1)
	s_add_i32 s3, s3, s2
	s_mul_i32 s2, s4, s16
	s_or_b64 s[4:5], s[2:3], s[12:13]
	s_mov_b32 s4, 0
	s_delay_alu instid0(SALU_CYCLE_1)
	s_cmp_lg_u64 s[4:5], 0
	s_cbranch_scc0 .LBB1_52
; %bb.4:
	s_add_u32 s8, s12, s13
	s_mov_b32 s6, s13
	s_mov_b32 s7, s13
	s_addc_u32 s9, s13, s13
	s_delay_alu instid0(SALU_CYCLE_1) | instskip(NEXT) | instid1(SALU_CYCLE_1)
	s_xor_b64 s[8:9], s[8:9], s[6:7]
	v_cvt_f32_u32_e32 v1, s8
	v_cvt_f32_u32_e32 v2, s9
	s_sub_u32 s11, 0, s8
	s_subb_u32 s19, 0, s9
	s_delay_alu instid0(VALU_DEP_1) | instskip(NEXT) | instid1(VALU_DEP_1)
	v_fmamk_f32 v1, v2, 0x4f800000, v1
	v_rcp_f32_e32 v1, v1
	s_waitcnt_depctr 0xfff
	v_mul_f32_e32 v1, 0x5f7ffffc, v1
	s_delay_alu instid0(VALU_DEP_1) | instskip(NEXT) | instid1(VALU_DEP_1)
	v_mul_f32_e32 v2, 0x2f800000, v1
	v_trunc_f32_e32 v2, v2
	s_delay_alu instid0(VALU_DEP_1) | instskip(SKIP_1) | instid1(VALU_DEP_2)
	v_fmamk_f32 v1, v2, 0xcf800000, v1
	v_cvt_u32_f32_e32 v2, v2
	v_cvt_u32_f32_e32 v1, v1
	s_delay_alu instid0(VALU_DEP_2) | instskip(NEXT) | instid1(VALU_DEP_2)
	v_readfirstlane_b32 s5, v2
	v_readfirstlane_b32 s10, v1
	s_delay_alu instid0(VALU_DEP_2) | instskip(NEXT) | instid1(VALU_DEP_1)
	s_mul_i32 s22, s11, s5
	s_mul_hi_u32 s28, s11, s10
	s_mul_i32 s23, s19, s10
	s_add_i32 s22, s28, s22
	s_mul_i32 s29, s11, s10
	s_add_i32 s22, s22, s23
	s_mul_hi_u32 s28, s10, s29
	s_mul_hi_u32 s30, s5, s29
	s_mul_i32 s23, s5, s29
	s_mul_hi_u32 s29, s10, s22
	s_mul_i32 s10, s10, s22
	s_mul_hi_u32 s31, s5, s22
	s_add_u32 s10, s28, s10
	s_addc_u32 s28, 0, s29
	s_add_u32 s10, s10, s23
	s_mul_i32 s22, s5, s22
	s_addc_u32 s10, s28, s30
	s_addc_u32 s23, s31, 0
	s_add_u32 s10, s10, s22
	s_addc_u32 s22, 0, s23
	v_add_co_u32 v1, s10, v1, s10
	s_delay_alu instid0(VALU_DEP_1) | instskip(SKIP_1) | instid1(VALU_DEP_1)
	s_cmp_lg_u32 s10, 0
	s_addc_u32 s5, s5, s22
	v_readfirstlane_b32 s10, v1
	s_mul_i32 s22, s11, s5
	s_delay_alu instid0(VALU_DEP_1)
	s_mul_hi_u32 s23, s11, s10
	s_mul_i32 s19, s19, s10
	s_add_i32 s22, s23, s22
	s_mul_i32 s11, s11, s10
	s_add_i32 s22, s22, s19
	s_mul_hi_u32 s23, s5, s11
	s_mul_i32 s28, s5, s11
	s_mul_hi_u32 s11, s10, s11
	s_mul_hi_u32 s29, s10, s22
	s_mul_i32 s10, s10, s22
	s_mul_hi_u32 s19, s5, s22
	s_add_u32 s10, s11, s10
	s_addc_u32 s11, 0, s29
	s_add_u32 s10, s10, s28
	s_mul_i32 s22, s5, s22
	s_addc_u32 s10, s11, s23
	s_addc_u32 s11, s19, 0
	s_add_u32 s10, s10, s22
	s_addc_u32 s11, 0, s11
	v_add_co_u32 v1, s10, v1, s10
	s_delay_alu instid0(VALU_DEP_1) | instskip(SKIP_2) | instid1(VALU_DEP_1)
	s_cmp_lg_u32 s10, 0
	s_addc_u32 s5, s5, s11
	s_ashr_i32 s10, s3, 31
	v_readfirstlane_b32 s19, v1
	s_add_u32 s22, s2, s10
	s_mov_b32 s11, s10
	s_addc_u32 s23, s3, s10
	s_delay_alu instid0(SALU_CYCLE_1) | instskip(NEXT) | instid1(SALU_CYCLE_1)
	s_xor_b64 s[22:23], s[22:23], s[10:11]
	s_mul_i32 s29, s22, s5
	s_mul_hi_u32 s30, s22, s19
	s_mul_hi_u32 s28, s22, s5
	;; [unrolled: 1-line block ×3, first 2 shown]
	s_mul_i32 s19, s23, s19
	s_add_u32 s29, s30, s29
	s_addc_u32 s28, 0, s28
	s_mul_hi_u32 s31, s23, s5
	s_add_u32 s19, s29, s19
	s_mul_i32 s5, s23, s5
	s_addc_u32 s19, s28, s33
	s_addc_u32 s28, s31, 0
	s_add_u32 s5, s19, s5
	s_addc_u32 s19, 0, s28
	s_mul_i32 s31, s8, s5
	s_mul_hi_u32 s28, s8, s5
	s_mul_i32 s30, s8, s19
	v_sub_co_u32 v1, s22, s22, s31
	s_mul_i32 s29, s9, s5
	s_add_i32 s28, s28, s30
	s_delay_alu instid0(SALU_CYCLE_1) | instskip(NEXT) | instid1(VALU_DEP_1)
	s_add_i32 s28, s28, s29
	v_sub_co_u32 v2, s30, v1, s8
	s_sub_i32 s29, s23, s28
	s_cmp_lg_u32 s22, 0
	s_subb_u32 s29, s29, s9
	s_cmp_lg_u32 s30, 0
	v_readfirstlane_b32 s30, v2
	s_subb_u32 s29, s29, 0
	s_delay_alu instid0(SALU_CYCLE_1) | instskip(SKIP_1) | instid1(VALU_DEP_1)
	s_cmp_ge_u32 s29, s9
	s_cselect_b32 s31, -1, 0
	s_cmp_ge_u32 s30, s8
	s_cselect_b32 s30, -1, 0
	s_cmp_eq_u32 s29, s9
	s_cselect_b32 s29, s30, s31
	s_add_u32 s30, s5, 1
	s_addc_u32 s31, s19, 0
	s_add_u32 s33, s5, 2
	s_addc_u32 s34, s19, 0
	s_cmp_lg_u32 s29, 0
	s_cselect_b32 s29, s33, s30
	s_cselect_b32 s30, s34, s31
	s_cmp_lg_u32 s22, 0
	v_readfirstlane_b32 s22, v1
	s_subb_u32 s23, s23, s28
	s_delay_alu instid0(SALU_CYCLE_1) | instskip(SKIP_1) | instid1(VALU_DEP_1)
	s_cmp_ge_u32 s23, s9
	s_cselect_b32 s28, -1, 0
	s_cmp_ge_u32 s22, s8
	s_cselect_b32 s8, -1, 0
	s_cmp_eq_u32 s23, s9
	s_cselect_b32 s8, s8, s28
	s_delay_alu instid0(SALU_CYCLE_1) | instskip(SKIP_3) | instid1(SALU_CYCLE_1)
	s_cmp_lg_u32 s8, 0
	s_cselect_b32 s9, s30, s19
	s_cselect_b32 s8, s29, s5
	s_xor_b64 s[6:7], s[10:11], s[6:7]
	s_xor_b64 s[8:9], s[8:9], s[6:7]
	s_delay_alu instid0(SALU_CYCLE_1)
	s_sub_u32 s22, s8, s6
	s_subb_u32 s23, s9, s7
	s_load_b32 s33, s[0:1], 0x64
	s_and_not1_b32 vcc_lo, exec_lo, s4
	s_cbranch_vccnz .LBB1_6
.LBB1_5:
	v_cvt_f32_u32_e32 v1, s12
	s_sub_i32 s5, 0, s12
	s_mov_b32 s23, 0
	s_delay_alu instid0(VALU_DEP_1) | instskip(SKIP_2) | instid1(VALU_DEP_1)
	v_rcp_iflag_f32_e32 v1, v1
	s_waitcnt_depctr 0xfff
	v_mul_f32_e32 v1, 0x4f7ffffe, v1
	v_cvt_u32_f32_e32 v1, v1
	s_delay_alu instid0(VALU_DEP_1) | instskip(NEXT) | instid1(VALU_DEP_1)
	v_readfirstlane_b32 s4, v1
	s_mul_i32 s5, s5, s4
	s_delay_alu instid0(SALU_CYCLE_1) | instskip(NEXT) | instid1(SALU_CYCLE_1)
	s_mul_hi_u32 s5, s4, s5
	s_add_i32 s4, s4, s5
	s_delay_alu instid0(SALU_CYCLE_1) | instskip(NEXT) | instid1(SALU_CYCLE_1)
	s_mul_hi_u32 s4, s2, s4
	s_mul_i32 s5, s4, s12
	s_add_i32 s6, s4, 1
	s_sub_i32 s5, s2, s5
	s_delay_alu instid0(SALU_CYCLE_1)
	s_sub_i32 s7, s5, s12
	s_cmp_ge_u32 s5, s12
	s_cselect_b32 s4, s6, s4
	s_cselect_b32 s5, s7, s5
	s_add_i32 s6, s4, 1
	s_cmp_ge_u32 s5, s12
	s_cselect_b32 s22, s6, s4
.LBB1_6:
	v_bfe_u32 v3, v0, 10, 10
	s_waitcnt lgkmcnt(0)
	s_lshr_b32 s35, s33, 16
	s_mov_b32 s4, exec_lo
	s_delay_alu instid0(VALU_DEP_1) | instskip(NEXT) | instid1(VALU_DEP_1)
	v_mad_u64_u32 v[1:2], null, s15, s35, v[3:4]
	v_cmpx_gt_i32_e64 s20, v1
	s_cbranch_execz .LBB1_50
; %bb.7:
	s_load_b256 s[4:11], s[0:1], 0x30
	s_add_u32 s2, s2, s16
	s_addc_u32 s3, s3, s14
	s_add_u32 s14, s2, -1
	s_addc_u32 s15, s3, -1
	s_delay_alu instid0(SALU_CYCLE_1) | instskip(SKIP_1) | instid1(SALU_CYCLE_1)
	s_or_b64 s[28:29], s[14:15], s[12:13]
	s_mov_b32 s28, 0
	s_cmp_lg_u64 s[28:29], 0
	s_cbranch_scc0 .LBB1_53
; %bb.8:
	s_add_u32 s2, s12, s13
	s_mov_b32 s30, s13
	s_mov_b32 s31, s13
	s_addc_u32 s3, s13, s13
	s_delay_alu instid0(SALU_CYCLE_1) | instskip(NEXT) | instid1(SALU_CYCLE_1)
	s_xor_b64 s[2:3], s[2:3], s[30:31]
	v_cvt_f32_u32_e32 v2, s2
	v_cvt_f32_u32_e32 v3, s3
	s_sub_u32 s19, 0, s2
	s_subb_u32 s29, 0, s3
	s_delay_alu instid0(VALU_DEP_1) | instskip(NEXT) | instid1(VALU_DEP_1)
	v_fmamk_f32 v2, v3, 0x4f800000, v2
	v_rcp_f32_e32 v2, v2
	s_waitcnt_depctr 0xfff
	v_mul_f32_e32 v2, 0x5f7ffffc, v2
	s_delay_alu instid0(VALU_DEP_1) | instskip(NEXT) | instid1(VALU_DEP_1)
	v_mul_f32_e32 v3, 0x2f800000, v2
	v_trunc_f32_e32 v3, v3
	s_delay_alu instid0(VALU_DEP_1) | instskip(SKIP_1) | instid1(VALU_DEP_2)
	v_fmamk_f32 v2, v3, 0xcf800000, v2
	v_cvt_u32_f32_e32 v3, v3
	v_cvt_u32_f32_e32 v2, v2
	s_delay_alu instid0(VALU_DEP_2) | instskip(NEXT) | instid1(VALU_DEP_2)
	v_readfirstlane_b32 s13, v3
	v_readfirstlane_b32 s16, v2
	s_delay_alu instid0(VALU_DEP_2) | instskip(NEXT) | instid1(VALU_DEP_1)
	s_mul_i32 s34, s19, s13
	s_mul_hi_u32 s37, s19, s16
	s_mul_i32 s36, s29, s16
	s_add_i32 s34, s37, s34
	s_mul_i32 s38, s19, s16
	s_add_i32 s34, s34, s36
	s_mul_hi_u32 s37, s16, s38
	s_mul_hi_u32 s39, s13, s38
	s_mul_i32 s36, s13, s38
	s_mul_hi_u32 s38, s16, s34
	s_mul_i32 s16, s16, s34
	s_mul_hi_u32 s40, s13, s34
	s_add_u32 s16, s37, s16
	s_addc_u32 s37, 0, s38
	s_add_u32 s16, s16, s36
	s_mul_i32 s34, s13, s34
	s_addc_u32 s16, s37, s39
	s_addc_u32 s36, s40, 0
	s_add_u32 s16, s16, s34
	s_addc_u32 s34, 0, s36
	v_add_co_u32 v2, s16, v2, s16
	s_delay_alu instid0(VALU_DEP_1) | instskip(SKIP_1) | instid1(VALU_DEP_1)
	s_cmp_lg_u32 s16, 0
	s_addc_u32 s13, s13, s34
	v_readfirstlane_b32 s16, v2
	s_mul_i32 s34, s19, s13
	s_delay_alu instid0(VALU_DEP_1)
	s_mul_hi_u32 s36, s19, s16
	s_mul_i32 s29, s29, s16
	s_add_i32 s34, s36, s34
	s_mul_i32 s19, s19, s16
	s_add_i32 s34, s34, s29
	s_mul_hi_u32 s36, s13, s19
	s_mul_i32 s37, s13, s19
	s_mul_hi_u32 s19, s16, s19
	s_mul_hi_u32 s38, s16, s34
	s_mul_i32 s16, s16, s34
	s_mul_hi_u32 s29, s13, s34
	s_add_u32 s16, s19, s16
	s_addc_u32 s19, 0, s38
	s_add_u32 s16, s16, s37
	s_mul_i32 s34, s13, s34
	s_addc_u32 s16, s19, s36
	s_addc_u32 s19, s29, 0
	s_add_u32 s16, s16, s34
	s_addc_u32 s19, 0, s19
	v_add_co_u32 v2, s16, v2, s16
	s_delay_alu instid0(VALU_DEP_1) | instskip(SKIP_2) | instid1(SALU_CYCLE_1)
	s_cmp_lg_u32 s16, 0
	s_addc_u32 s13, s13, s19
	s_ashr_i32 s36, s15, 31
	s_add_u32 s38, s14, s36
	s_addc_u32 s39, s15, s36
	v_readfirstlane_b32 s15, v2
	s_mov_b32 s37, s36
	s_delay_alu instid0(SALU_CYCLE_1) | instskip(NEXT) | instid1(SALU_CYCLE_1)
	s_xor_b64 s[38:39], s[38:39], s[36:37]
	s_mul_i32 s19, s38, s13
	s_delay_alu instid0(VALU_DEP_1)
	s_mul_hi_u32 s29, s38, s15
	s_mul_hi_u32 s16, s38, s13
	;; [unrolled: 1-line block ×3, first 2 shown]
	s_mul_i32 s15, s39, s15
	s_add_u32 s19, s29, s19
	s_addc_u32 s16, 0, s16
	s_mul_hi_u32 s34, s39, s13
	s_add_u32 s15, s19, s15
	s_mul_i32 s13, s39, s13
	s_addc_u32 s15, s16, s40
	s_addc_u32 s16, s34, 0
	s_add_u32 s13, s15, s13
	s_addc_u32 s15, 0, s16
	s_mul_hi_u32 s16, s2, s13
	s_mul_i32 s15, s2, s15
	s_mul_i32 s29, s2, s13
	;; [unrolled: 1-line block ×3, first 2 shown]
	s_add_i32 s15, s16, s15
	v_sub_co_u32 v2, s16, s38, s29
	s_add_i32 s15, s15, s19
	s_delay_alu instid0(SALU_CYCLE_1) | instskip(SKIP_1) | instid1(VALU_DEP_1)
	s_sub_i32 s19, s39, s15
	s_cmp_lg_u32 s16, 0
	v_sub_co_u32 v3, s29, v2, s2
	s_subb_u32 s19, s19, s3
	s_cmp_lg_u32 s29, 0
	s_subb_u32 s19, s19, 0
	s_delay_alu instid0(VALU_DEP_1)
	v_cmp_le_u32_e32 vcc_lo, s2, v3
	s_cmp_ge_u32 s19, s3
	v_cmp_le_u32_e64 s2, s2, v2
	s_cselect_b32 s29, -1, 0
	s_cmp_eq_u32 s19, s3
	v_cndmask_b32_e64 v3, 0, -1, vcc_lo
	s_cselect_b32 vcc_lo, -1, 0
	s_add_u32 s19, s13, 1
	s_add_u32 s34, s13, 2
	s_cmp_lg_u32 s16, 0
	v_mov_b32_e32 v4, s34
	v_cndmask_b32_e64 v2, 0, -1, s2
	s_subb_u32 s2, s39, s15
	v_cndmask_b32_e32 v3, s29, v3, vcc_lo
	s_cmp_ge_u32 s2, s3
	s_cselect_b32 s15, -1, 0
	s_cmp_eq_u32 s2, s3
	s_cselect_b32 vcc_lo, -1, 0
	s_xor_b64 s[2:3], s[36:37], s[30:31]
	v_cndmask_b32_e32 v2, s15, v2, vcc_lo
	v_cmp_ne_u32_e32 vcc_lo, 0, v3
	v_cndmask_b32_e32 v3, s19, v4, vcc_lo
	s_delay_alu instid0(VALU_DEP_3) | instskip(NEXT) | instid1(VALU_DEP_2)
	v_cmp_ne_u32_e32 vcc_lo, 0, v2
	v_cndmask_b32_e32 v2, s13, v3, vcc_lo
	s_delay_alu instid0(VALU_DEP_1) | instskip(NEXT) | instid1(VALU_DEP_1)
	v_xor_b32_e32 v2, s2, v2
	v_sub_co_u32 v2, vcc_lo, v2, s2
	s_load_b32 s2, s[0:1], 0x5c
	s_and_not1_b32 vcc_lo, exec_lo, s28
	s_cbranch_vccnz .LBB1_10
.LBB1_9:
	v_cvt_f32_u32_e32 v2, s12
	s_sub_i32 s3, 0, s12
	s_delay_alu instid0(VALU_DEP_1) | instskip(SKIP_2) | instid1(VALU_DEP_1)
	v_rcp_iflag_f32_e32 v2, v2
	s_waitcnt_depctr 0xfff
	v_mul_f32_e32 v2, 0x4f7ffffe, v2
	v_cvt_u32_f32_e32 v2, v2
	s_delay_alu instid0(VALU_DEP_1) | instskip(NEXT) | instid1(VALU_DEP_1)
	v_mul_lo_u32 v3, s3, v2
	v_mul_hi_u32 v3, v2, v3
	s_delay_alu instid0(VALU_DEP_1) | instskip(NEXT) | instid1(VALU_DEP_1)
	v_add_nc_u32_e32 v2, v2, v3
	v_mul_hi_u32 v2, s14, v2
	s_delay_alu instid0(VALU_DEP_1) | instskip(SKIP_1) | instid1(VALU_DEP_2)
	v_mul_lo_u32 v3, v2, s12
	v_add_nc_u32_e32 v4, 1, v2
	v_sub_nc_u32_e32 v3, s14, v3
	s_delay_alu instid0(VALU_DEP_1) | instskip(SKIP_1) | instid1(VALU_DEP_2)
	v_subrev_nc_u32_e32 v5, s12, v3
	v_cmp_le_u32_e32 vcc_lo, s12, v3
	v_dual_cndmask_b32 v3, v3, v5 :: v_dual_cndmask_b32 v2, v2, v4
	s_delay_alu instid0(VALU_DEP_1) | instskip(NEXT) | instid1(VALU_DEP_2)
	v_cmp_le_u32_e32 vcc_lo, s12, v3
	v_add_nc_u32_e32 v4, 1, v2
	s_delay_alu instid0(VALU_DEP_1)
	v_cndmask_b32_e32 v2, v2, v4, vcc_lo
.LBB1_10:
	s_clause 0x1
	s_load_b128 s[12:15], s[0:1], 0x0
	s_load_b64 s[0:1], s[0:1], 0x10
	s_mul_i32 s3, s21, s20
	s_bfe_i64 s[30:31], s[26:27], 0x200000
	s_bfe_i64 s[28:29], s[22:23], 0x200000
	s_mul_hi_i32 s23, s21, s20
	s_mul_i32 s25, s3, s25
	s_mul_hi_u32 s27, s3, s24
	s_mul_i32 s23, s23, s24
	s_add_i32 s25, s27, s25
	s_mul_i32 s36, s3, s24
	s_add_i32 s37, s25, s23
	s_ashr_i32 s16, s20, 31
	s_lshl_b64 s[24:25], s[36:37], 2
	s_ashr_i32 s23, s21, 31
	s_waitcnt lgkmcnt(0)
	s_mul_hi_u32 s3, s6, s22
	s_mul_i32 s34, s6, s29
	s_mul_i32 s5, s5, s26
	s_mov_b32 s19, s20
	v_subrev_nc_u32_e32 v2, s22, v2
	s_add_u32 s24, s14, s24
	s_addc_u32 s25, s15, s25
	s_lshl_b64 s[14:15], s[36:37], 3
	v_cvt_f32_u32_e32 v4, s19
	s_add_u32 s27, s0, s14
	s_addc_u32 s28, s1, s15
	s_add_i32 s0, s3, s34
	s_mul_hi_u32 s3, s4, s26
	s_mul_i32 s14, s4, s31
	s_mul_i32 s1, s7, s22
	s_add_i32 s3, s3, s14
	s_add_i32 s1, s0, s1
	s_mul_i32 s0, s6, s22
	s_add_i32 s5, s3, s5
	s_mul_i32 s4, s4, s26
	s_lshl_b64 s[0:1], s[0:1], 2
	s_lshl_b64 s[4:5], s[4:5], 2
	s_and_b32 s29, s33, 0xffff
	s_ashr_i32 s30, s17, 31
	s_ashr_i32 s26, s18, 31
	s_add_u32 s0, s0, s4
	s_addc_u32 s1, s1, s5
	s_add_u32 s12, s12, s0
	s_addc_u32 s13, s13, s1
	s_ashr_i32 s31, s20, 31
	v_rcp_iflag_f32_e32 v4, v4
	s_add_i32 s0, s20, s31
	s_sub_i32 s1, 0, s20
	s_xor_b32 s33, s0, s31
	v_and_b32_e32 v0, 0x3ff, v0
	v_cvt_f32_u32_e32 v3, s33
	s_sub_i32 s0, 0, s33
	v_add_nc_u32_e32 v7, 1, v2
	s_mov_b32 s34, s21
	s_mul_i32 s35, s2, s35
	v_rcp_iflag_f32_e32 v3, v3
	s_waitcnt_depctr 0xfff
	v_mul_f32_e32 v4, 0x4f7ffffe, v4
	v_max_i32_e32 v16, 1, v7
	s_mov_b32 s36, s17
	s_mul_i32 s37, s22, s17
	s_lshl_b64 s[8:9], s[8:9], 2
	v_cvt_u32_f32_e32 v4, v4
	s_lshl_b64 s[10:11], s[10:11], 2
	s_lshl_b64 s[6:7], s[6:7], 2
	s_mul_i32 s38, s18, s17
	v_mul_f32_e32 v3, 0x4f7ffffe, v3
	v_mul_lo_u32 v6, s1, v4
	v_cmp_gt_u32_e64 s1, 0x7fffffff, v2
	s_mov_b32 s39, 0
	s_delay_alu instid0(VALU_DEP_3) | instskip(NEXT) | instid1(VALU_DEP_3)
	v_cvt_u32_f32_e32 v5, v3
	v_mul_hi_u32 v6, v4, v6
	s_delay_alu instid0(VALU_DEP_2) | instskip(NEXT) | instid1(VALU_DEP_2)
	v_mul_lo_u32 v3, s0, v5
	v_add_nc_u32_e32 v18, v4, v6
	s_delay_alu instid0(VALU_DEP_2) | instskip(SKIP_2) | instid1(VALU_DEP_3)
	v_mul_hi_u32 v8, v5, v3
	v_mov_b32_e32 v3, 0
	v_cmp_gt_i32_e64 s0, s21, v0
	v_add_nc_u32_e32 v17, v5, v8
	s_branch .LBB1_12
.LBB1_11:                               ;   in Loop: Header=BB1_12 Depth=1
	s_or_b32 exec_lo, exec_lo, s40
	v_add_nc_u32_e32 v1, s35, v1
	s_delay_alu instid0(VALU_DEP_1) | instskip(SKIP_1) | instid1(SALU_CYCLE_1)
	v_cmp_le_i32_e32 vcc_lo, s20, v1
	s_or_b32 s39, vcc_lo, s39
	s_and_not1_b32 exec_lo, exec_lo, s39
	s_cbranch_execz .LBB1_50
.LBB1_12:                               ; =>This Loop Header: Depth=1
                                        ;     Child Loop BB1_27 Depth 2
                                        ;       Child Loop BB1_43 Depth 3
                                        ;         Child Loop BB1_46 Depth 4
                                        ;           Child Loop BB1_48 Depth 5
	v_ashrrev_i32_e32 v7, 31, v1
	v_mov_b32_e32 v4, v3
	s_delay_alu instid0(VALU_DEP_2) | instskip(NEXT) | instid1(VALU_DEP_1)
	v_or_b32_e32 v5, s16, v7
	v_cmp_ne_u64_e32 vcc_lo, 0, v[4:5]
                                        ; implicit-def: $vgpr4_vgpr5
	s_and_saveexec_b32 s2, vcc_lo
	s_delay_alu instid0(SALU_CYCLE_1)
	s_xor_b32 s2, exec_lo, s2
	s_cbranch_execz .LBB1_14
; %bb.13:                               ;   in Loop: Header=BB1_12 Depth=1
	v_ashrrev_i32_e32 v2, 31, v1
	s_delay_alu instid0(VALU_DEP_1) | instskip(NEXT) | instid1(VALU_DEP_1)
	v_add_nc_u32_e32 v4, v1, v2
	v_xor_b32_e32 v4, v4, v2
	v_xor_b32_e32 v2, s31, v2
	s_delay_alu instid0(VALU_DEP_2) | instskip(NEXT) | instid1(VALU_DEP_1)
	v_mul_hi_u32 v5, v4, v17
	v_mul_lo_u32 v6, v5, s33
	s_delay_alu instid0(VALU_DEP_1) | instskip(SKIP_1) | instid1(VALU_DEP_2)
	v_sub_nc_u32_e32 v4, v4, v6
	v_add_nc_u32_e32 v6, 1, v5
	v_subrev_nc_u32_e32 v8, s33, v4
	v_cmp_le_u32_e32 vcc_lo, s33, v4
	s_delay_alu instid0(VALU_DEP_2) | instskip(NEXT) | instid1(VALU_DEP_1)
	v_dual_cndmask_b32 v4, v4, v8 :: v_dual_cndmask_b32 v5, v5, v6
	v_cmp_le_u32_e32 vcc_lo, s33, v4
	s_delay_alu instid0(VALU_DEP_2) | instskip(NEXT) | instid1(VALU_DEP_1)
	v_add_nc_u32_e32 v6, 1, v5
	v_cndmask_b32_e32 v4, v5, v6, vcc_lo
	s_delay_alu instid0(VALU_DEP_1) | instskip(NEXT) | instid1(VALU_DEP_1)
	v_xor_b32_e32 v4, v4, v2
	v_sub_nc_u32_e32 v4, v4, v2
	s_delay_alu instid0(VALU_DEP_1)
	v_ashrrev_i32_e32 v5, 31, v4
.LBB1_14:                               ;   in Loop: Header=BB1_12 Depth=1
	s_and_not1_saveexec_b32 s2, s2
	s_cbranch_execz .LBB1_16
; %bb.15:                               ;   in Loop: Header=BB1_12 Depth=1
	v_mul_hi_u32 v2, v1, v18
	s_delay_alu instid0(VALU_DEP_1) | instskip(SKIP_1) | instid1(VALU_DEP_2)
	v_mul_lo_u32 v4, v2, s19
	v_add_nc_u32_e32 v5, 1, v2
	v_sub_nc_u32_e32 v4, v1, v4
	s_delay_alu instid0(VALU_DEP_1) | instskip(SKIP_1) | instid1(VALU_DEP_2)
	v_subrev_nc_u32_e32 v6, s19, v4
	v_cmp_le_u32_e32 vcc_lo, s19, v4
	v_cndmask_b32_e32 v4, v4, v6, vcc_lo
	v_cndmask_b32_e32 v2, v2, v5, vcc_lo
	s_delay_alu instid0(VALU_DEP_2) | instskip(NEXT) | instid1(VALU_DEP_2)
	v_cmp_le_u32_e32 vcc_lo, s19, v4
	v_add_nc_u32_e32 v5, 1, v2
	s_delay_alu instid0(VALU_DEP_1) | instskip(NEXT) | instid1(VALU_DEP_1)
	v_cndmask_b32_e32 v2, v2, v5, vcc_lo
	v_dual_mov_b32 v5, v3 :: v_dual_mov_b32 v4, v2
.LBB1_16:                               ;   in Loop: Header=BB1_12 Depth=1
	s_or_b32 exec_lo, exec_lo, s2
	s_delay_alu instid0(VALU_DEP_1) | instskip(NEXT) | instid1(VALU_DEP_2)
	v_mul_lo_u32 v2, v5, s19
	v_mul_lo_u32 v8, v4, s16
	v_mad_u64_u32 v[5:6], null, v4, s19, 0
	s_delay_alu instid0(VALU_DEP_1) | instskip(NEXT) | instid1(VALU_DEP_2)
	v_add3_u32 v2, v6, v8, v2
	v_sub_co_u32 v8, vcc_lo, v1, v5
	s_delay_alu instid0(VALU_DEP_2) | instskip(NEXT) | instid1(VALU_DEP_2)
	v_sub_co_ci_u32_e32 v2, vcc_lo, v7, v2, vcc_lo
	v_mul_lo_u32 v9, v8, s30
	v_mad_u64_u32 v[5:6], null, v8, s36, 0
	s_delay_alu instid0(VALU_DEP_3) | instskip(SKIP_1) | instid1(VALU_DEP_2)
	v_mul_lo_u32 v2, v2, s36
	v_mov_b32_e32 v8, v3
	v_add3_u32 v6, v6, v9, v2
	s_delay_alu instid0(VALU_DEP_1) | instskip(NEXT) | instid1(VALU_DEP_1)
	v_or_b32_e32 v9, s16, v6
	v_cmp_ne_u64_e32 vcc_lo, 0, v[8:9]
                                        ; implicit-def: $vgpr8_vgpr9
	s_and_saveexec_b32 s2, vcc_lo
	s_delay_alu instid0(SALU_CYCLE_1)
	s_xor_b32 s3, exec_lo, s2
	s_cbranch_execz .LBB1_18
; %bb.17:                               ;   in Loop: Header=BB1_12 Depth=1
	s_add_u32 s14, s19, s16
	s_mov_b32 s4, s16
	s_mov_b32 s5, s16
	s_addc_u32 s15, s16, s16
	s_delay_alu instid0(SALU_CYCLE_1) | instskip(NEXT) | instid1(SALU_CYCLE_1)
	s_xor_b64 s[14:15], s[14:15], s[4:5]
	v_cvt_f32_u32_e32 v2, s14
	v_cvt_f32_u32_e32 v8, s15
	s_sub_u32 s2, 0, s14
	s_subb_u32 s40, 0, s15
	s_delay_alu instid0(VALU_DEP_1) | instskip(NEXT) | instid1(VALU_DEP_1)
	v_fmac_f32_e32 v2, 0x4f800000, v8
	v_rcp_f32_e32 v2, v2
	s_waitcnt_depctr 0xfff
	v_mul_f32_e32 v2, 0x5f7ffffc, v2
	s_delay_alu instid0(VALU_DEP_1) | instskip(NEXT) | instid1(VALU_DEP_1)
	v_mul_f32_e32 v8, 0x2f800000, v2
	v_trunc_f32_e32 v8, v8
	s_delay_alu instid0(VALU_DEP_1) | instskip(SKIP_1) | instid1(VALU_DEP_2)
	v_fmac_f32_e32 v2, 0xcf800000, v8
	v_cvt_u32_f32_e32 v8, v8
	v_cvt_u32_f32_e32 v2, v2
	s_delay_alu instid0(VALU_DEP_2) | instskip(NEXT) | instid1(VALU_DEP_2)
	v_mul_lo_u32 v9, s2, v8
	v_mul_hi_u32 v10, s2, v2
	v_mul_lo_u32 v11, s40, v2
	s_delay_alu instid0(VALU_DEP_2) | instskip(SKIP_1) | instid1(VALU_DEP_2)
	v_add_nc_u32_e32 v9, v10, v9
	v_mul_lo_u32 v10, s2, v2
	v_add_nc_u32_e32 v9, v9, v11
	s_delay_alu instid0(VALU_DEP_2) | instskip(NEXT) | instid1(VALU_DEP_2)
	v_mul_hi_u32 v11, v2, v10
	v_mul_lo_u32 v12, v2, v9
	v_mul_hi_u32 v13, v2, v9
	v_mul_hi_u32 v14, v8, v10
	v_mul_lo_u32 v10, v8, v10
	v_mul_hi_u32 v15, v8, v9
	v_mul_lo_u32 v9, v8, v9
	v_add_co_u32 v11, vcc_lo, v11, v12
	v_add_co_ci_u32_e32 v12, vcc_lo, 0, v13, vcc_lo
	s_delay_alu instid0(VALU_DEP_2) | instskip(NEXT) | instid1(VALU_DEP_2)
	v_add_co_u32 v10, vcc_lo, v11, v10
	v_add_co_ci_u32_e32 v10, vcc_lo, v12, v14, vcc_lo
	v_add_co_ci_u32_e32 v11, vcc_lo, 0, v15, vcc_lo
	v_ashrrev_i32_e32 v14, 31, v6
	s_delay_alu instid0(VALU_DEP_3) | instskip(NEXT) | instid1(VALU_DEP_3)
	v_add_co_u32 v9, vcc_lo, v10, v9
	v_add_co_ci_u32_e32 v10, vcc_lo, 0, v11, vcc_lo
	s_delay_alu instid0(VALU_DEP_2) | instskip(NEXT) | instid1(VALU_DEP_2)
	v_add_co_u32 v2, vcc_lo, v2, v9
	v_add_co_ci_u32_e32 v8, vcc_lo, v8, v10, vcc_lo
	s_delay_alu instid0(VALU_DEP_2) | instskip(SKIP_1) | instid1(VALU_DEP_3)
	v_mul_hi_u32 v9, s2, v2
	v_mul_lo_u32 v11, s40, v2
	v_mul_lo_u32 v10, s2, v8
	s_delay_alu instid0(VALU_DEP_1) | instskip(SKIP_1) | instid1(VALU_DEP_2)
	v_add_nc_u32_e32 v9, v9, v10
	v_mul_lo_u32 v10, s2, v2
	v_add_nc_u32_e32 v9, v9, v11
	s_delay_alu instid0(VALU_DEP_2) | instskip(NEXT) | instid1(VALU_DEP_2)
	v_mul_hi_u32 v11, v2, v10
	v_mul_lo_u32 v12, v2, v9
	v_mul_hi_u32 v13, v2, v9
	v_mul_hi_u32 v15, v8, v10
	v_mul_lo_u32 v10, v8, v10
	v_mul_hi_u32 v19, v8, v9
	v_mul_lo_u32 v9, v8, v9
	v_add_co_u32 v11, vcc_lo, v11, v12
	v_add_co_ci_u32_e32 v12, vcc_lo, 0, v13, vcc_lo
	s_delay_alu instid0(VALU_DEP_2) | instskip(NEXT) | instid1(VALU_DEP_2)
	v_add_co_u32 v10, vcc_lo, v11, v10
	v_add_co_ci_u32_e32 v10, vcc_lo, v12, v15, vcc_lo
	v_add_co_ci_u32_e32 v11, vcc_lo, 0, v19, vcc_lo
	v_add_co_u32 v5, vcc_lo, v5, v14
	v_add_co_ci_u32_e32 v6, vcc_lo, v6, v14, vcc_lo
	s_delay_alu instid0(VALU_DEP_4) | instskip(NEXT) | instid1(VALU_DEP_4)
	v_add_co_u32 v9, vcc_lo, v10, v9
	v_add_co_ci_u32_e32 v10, vcc_lo, 0, v11, vcc_lo
	s_delay_alu instid0(VALU_DEP_4) | instskip(NEXT) | instid1(VALU_DEP_3)
	v_xor_b32_e32 v12, v5, v14
	v_add_co_u32 v2, vcc_lo, v2, v9
	s_delay_alu instid0(VALU_DEP_3) | instskip(SKIP_1) | instid1(VALU_DEP_3)
	v_add_co_ci_u32_e32 v13, vcc_lo, v8, v10, vcc_lo
	v_xor_b32_e32 v15, v6, v14
	v_mul_hi_u32 v19, v12, v2
	s_delay_alu instid0(VALU_DEP_3) | instskip(NEXT) | instid1(VALU_DEP_3)
	v_mad_u64_u32 v[5:6], null, v12, v13, 0
	v_mad_u64_u32 v[8:9], null, v15, v2, 0
	;; [unrolled: 1-line block ×3, first 2 shown]
	s_delay_alu instid0(VALU_DEP_3) | instskip(NEXT) | instid1(VALU_DEP_4)
	v_add_co_u32 v2, vcc_lo, v19, v5
	v_add_co_ci_u32_e32 v5, vcc_lo, 0, v6, vcc_lo
	s_delay_alu instid0(VALU_DEP_2) | instskip(NEXT) | instid1(VALU_DEP_2)
	v_add_co_u32 v2, vcc_lo, v2, v8
	v_add_co_ci_u32_e32 v2, vcc_lo, v5, v9, vcc_lo
	v_add_co_ci_u32_e32 v5, vcc_lo, 0, v11, vcc_lo
	s_delay_alu instid0(VALU_DEP_2) | instskip(NEXT) | instid1(VALU_DEP_2)
	v_add_co_u32 v2, vcc_lo, v2, v10
	v_add_co_ci_u32_e32 v8, vcc_lo, 0, v5, vcc_lo
	s_delay_alu instid0(VALU_DEP_2) | instskip(SKIP_1) | instid1(VALU_DEP_3)
	v_mul_lo_u32 v9, s15, v2
	v_mad_u64_u32 v[5:6], null, s14, v2, 0
	v_mul_lo_u32 v10, s14, v8
	s_delay_alu instid0(VALU_DEP_2) | instskip(NEXT) | instid1(VALU_DEP_2)
	v_sub_co_u32 v5, vcc_lo, v12, v5
	v_add3_u32 v6, v6, v10, v9
	s_delay_alu instid0(VALU_DEP_1) | instskip(NEXT) | instid1(VALU_DEP_1)
	v_sub_nc_u32_e32 v9, v15, v6
	v_subrev_co_ci_u32_e64 v9, s2, s15, v9, vcc_lo
	v_add_co_u32 v10, s2, v2, 2
	s_delay_alu instid0(VALU_DEP_1) | instskip(SKIP_3) | instid1(VALU_DEP_3)
	v_add_co_ci_u32_e64 v11, s2, 0, v8, s2
	v_sub_co_u32 v12, s2, v5, s14
	v_sub_co_ci_u32_e32 v6, vcc_lo, v15, v6, vcc_lo
	v_subrev_co_ci_u32_e64 v9, s2, 0, v9, s2
	v_cmp_le_u32_e32 vcc_lo, s14, v12
	s_delay_alu instid0(VALU_DEP_3) | instskip(SKIP_1) | instid1(VALU_DEP_4)
	v_cmp_eq_u32_e64 s2, s15, v6
	v_cndmask_b32_e64 v12, 0, -1, vcc_lo
	v_cmp_le_u32_e32 vcc_lo, s15, v9
	v_cndmask_b32_e64 v13, 0, -1, vcc_lo
	v_cmp_le_u32_e32 vcc_lo, s14, v5
	;; [unrolled: 2-line block ×3, first 2 shown]
	v_cndmask_b32_e64 v15, 0, -1, vcc_lo
	v_cmp_eq_u32_e32 vcc_lo, s15, v9
	s_delay_alu instid0(VALU_DEP_2) | instskip(SKIP_3) | instid1(VALU_DEP_3)
	v_cndmask_b32_e64 v5, v15, v5, s2
	v_cndmask_b32_e32 v9, v13, v12, vcc_lo
	v_add_co_u32 v12, vcc_lo, v2, 1
	v_add_co_ci_u32_e32 v13, vcc_lo, 0, v8, vcc_lo
	v_cmp_ne_u32_e32 vcc_lo, 0, v9
	s_delay_alu instid0(VALU_DEP_2) | instskip(SKIP_2) | instid1(VALU_DEP_3)
	v_dual_cndmask_b32 v6, v13, v11 :: v_dual_cndmask_b32 v9, v12, v10
	v_cmp_ne_u32_e32 vcc_lo, 0, v5
	v_xor_b32_e32 v5, s4, v14
	v_cndmask_b32_e32 v2, v2, v9, vcc_lo
	s_delay_alu instid0(VALU_DEP_4) | instskip(SKIP_1) | instid1(VALU_DEP_3)
	v_cndmask_b32_e32 v6, v8, v6, vcc_lo
	v_xor_b32_e32 v9, s5, v14
	v_xor_b32_e32 v2, v2, v5
	s_delay_alu instid0(VALU_DEP_2) | instskip(NEXT) | instid1(VALU_DEP_2)
	v_xor_b32_e32 v6, v6, v9
	v_sub_co_u32 v8, vcc_lo, v2, v5
	s_delay_alu instid0(VALU_DEP_2)
	v_sub_co_ci_u32_e32 v9, vcc_lo, v6, v9, vcc_lo
                                        ; implicit-def: $vgpr5_vgpr6
.LBB1_18:                               ;   in Loop: Header=BB1_12 Depth=1
	s_and_not1_saveexec_b32 s2, s3
; %bb.19:                               ;   in Loop: Header=BB1_12 Depth=1
	v_mul_hi_u32 v2, v5, v18
	s_delay_alu instid0(VALU_DEP_1) | instskip(NEXT) | instid1(VALU_DEP_1)
	v_mul_lo_u32 v6, v2, s19
	v_sub_nc_u32_e32 v5, v5, v6
	s_delay_alu instid0(VALU_DEP_1) | instskip(SKIP_1) | instid1(VALU_DEP_2)
	v_subrev_nc_u32_e32 v8, s19, v5
	v_cmp_le_u32_e32 vcc_lo, s19, v5
	v_dual_cndmask_b32 v5, v5, v8 :: v_dual_add_nc_u32 v6, 1, v2
	s_delay_alu instid0(VALU_DEP_1) | instskip(NEXT) | instid1(VALU_DEP_2)
	v_cndmask_b32_e32 v2, v2, v6, vcc_lo
	v_cmp_le_u32_e32 vcc_lo, s19, v5
	s_delay_alu instid0(VALU_DEP_2) | instskip(NEXT) | instid1(VALU_DEP_1)
	v_add_nc_u32_e32 v6, 1, v2
	v_cndmask_b32_e32 v2, v2, v6, vcc_lo
	s_delay_alu instid0(VALU_DEP_1)
	v_dual_mov_b32 v9, v3 :: v_dual_mov_b32 v8, v2
; %bb.20:                               ;   in Loop: Header=BB1_12 Depth=1
	s_or_b32 exec_lo, exec_lo, s2
	v_add_co_u32 v2, vcc_lo, v1, 1
	v_add_co_ci_u32_e32 v5, vcc_lo, 0, v7, vcc_lo
	s_delay_alu instid0(VALU_DEP_2) | instskip(NEXT) | instid1(VALU_DEP_2)
	v_mul_lo_u32 v7, v2, s30
	v_mul_lo_u32 v10, v5, s36
	v_mad_u64_u32 v[5:6], null, v2, s36, -1
	s_delay_alu instid0(VALU_DEP_1) | instskip(SKIP_1) | instid1(VALU_DEP_2)
	v_add3_u32 v6, v10, v6, v7
	v_mov_b32_e32 v10, v3
	v_or_b32_e32 v11, s16, v6
	s_delay_alu instid0(VALU_DEP_1) | instskip(SKIP_1) | instid1(SALU_CYCLE_1)
	v_cmp_ne_u64_e32 vcc_lo, 0, v[10:11]
                                        ; implicit-def: $vgpr10_vgpr11
	s_and_saveexec_b32 s2, vcc_lo
	s_xor_b32 s3, exec_lo, s2
	s_cbranch_execnz .LBB1_23
; %bb.21:                               ;   in Loop: Header=BB1_12 Depth=1
	s_and_not1_saveexec_b32 s2, s3
	s_cbranch_execnz .LBB1_24
.LBB1_22:                               ;   in Loop: Header=BB1_12 Depth=1
	s_or_b32 exec_lo, exec_lo, s2
	s_and_saveexec_b32 s40, s0
	s_cbranch_execz .LBB1_11
	s_branch .LBB1_25
.LBB1_23:                               ;   in Loop: Header=BB1_12 Depth=1
	s_add_u32 s14, s19, s16
	s_mov_b32 s4, s16
	s_mov_b32 s5, s16
	s_addc_u32 s15, s16, s16
	s_delay_alu instid0(SALU_CYCLE_1) | instskip(NEXT) | instid1(SALU_CYCLE_1)
	s_xor_b64 s[14:15], s[14:15], s[4:5]
	v_cvt_f32_u32_e32 v2, s14
	v_cvt_f32_u32_e32 v7, s15
	s_sub_u32 s2, 0, s14
	s_subb_u32 s5, 0, s15
	s_delay_alu instid0(VALU_DEP_1) | instskip(NEXT) | instid1(VALU_DEP_1)
	v_fmac_f32_e32 v2, 0x4f800000, v7
	v_rcp_f32_e32 v2, v2
	s_waitcnt_depctr 0xfff
	v_mul_f32_e32 v2, 0x5f7ffffc, v2
	s_delay_alu instid0(VALU_DEP_1) | instskip(NEXT) | instid1(VALU_DEP_1)
	v_mul_f32_e32 v7, 0x2f800000, v2
	v_trunc_f32_e32 v7, v7
	s_delay_alu instid0(VALU_DEP_1) | instskip(SKIP_1) | instid1(VALU_DEP_2)
	v_fmac_f32_e32 v2, 0xcf800000, v7
	v_cvt_u32_f32_e32 v7, v7
	v_cvt_u32_f32_e32 v2, v2
	s_delay_alu instid0(VALU_DEP_2) | instskip(NEXT) | instid1(VALU_DEP_2)
	v_mul_lo_u32 v10, s2, v7
	v_mul_hi_u32 v11, s2, v2
	v_mul_lo_u32 v12, s5, v2
	s_delay_alu instid0(VALU_DEP_2) | instskip(SKIP_1) | instid1(VALU_DEP_2)
	v_add_nc_u32_e32 v10, v11, v10
	v_mul_lo_u32 v11, s2, v2
	v_add_nc_u32_e32 v10, v10, v12
	s_delay_alu instid0(VALU_DEP_2) | instskip(NEXT) | instid1(VALU_DEP_2)
	v_mul_hi_u32 v12, v2, v11
	v_mul_lo_u32 v13, v2, v10
	v_mul_hi_u32 v14, v2, v10
	v_mul_hi_u32 v15, v7, v11
	v_mul_lo_u32 v11, v7, v11
	v_mul_hi_u32 v19, v7, v10
	v_mul_lo_u32 v10, v7, v10
	v_add_co_u32 v12, vcc_lo, v12, v13
	v_add_co_ci_u32_e32 v13, vcc_lo, 0, v14, vcc_lo
	s_delay_alu instid0(VALU_DEP_2) | instskip(NEXT) | instid1(VALU_DEP_2)
	v_add_co_u32 v11, vcc_lo, v12, v11
	v_add_co_ci_u32_e32 v11, vcc_lo, v13, v15, vcc_lo
	v_add_co_ci_u32_e32 v12, vcc_lo, 0, v19, vcc_lo
	v_ashrrev_i32_e32 v15, 31, v6
	s_delay_alu instid0(VALU_DEP_3) | instskip(NEXT) | instid1(VALU_DEP_3)
	v_add_co_u32 v10, vcc_lo, v11, v10
	v_add_co_ci_u32_e32 v11, vcc_lo, 0, v12, vcc_lo
	s_delay_alu instid0(VALU_DEP_2) | instskip(NEXT) | instid1(VALU_DEP_2)
	v_add_co_u32 v2, vcc_lo, v2, v10
	v_add_co_ci_u32_e32 v7, vcc_lo, v7, v11, vcc_lo
	s_delay_alu instid0(VALU_DEP_2) | instskip(SKIP_1) | instid1(VALU_DEP_3)
	v_mul_hi_u32 v10, s2, v2
	v_mul_lo_u32 v12, s5, v2
	v_mul_lo_u32 v11, s2, v7
	s_delay_alu instid0(VALU_DEP_1) | instskip(SKIP_1) | instid1(VALU_DEP_2)
	v_add_nc_u32_e32 v10, v10, v11
	v_mul_lo_u32 v11, s2, v2
	v_add_nc_u32_e32 v10, v10, v12
	s_delay_alu instid0(VALU_DEP_2) | instskip(NEXT) | instid1(VALU_DEP_2)
	v_mul_hi_u32 v12, v2, v11
	v_mul_lo_u32 v13, v2, v10
	v_mul_hi_u32 v14, v2, v10
	v_mul_hi_u32 v19, v7, v11
	v_mul_lo_u32 v11, v7, v11
	v_mul_hi_u32 v20, v7, v10
	v_mul_lo_u32 v10, v7, v10
	v_add_co_u32 v12, vcc_lo, v12, v13
	v_add_co_ci_u32_e32 v13, vcc_lo, 0, v14, vcc_lo
	s_delay_alu instid0(VALU_DEP_2) | instskip(NEXT) | instid1(VALU_DEP_2)
	v_add_co_u32 v11, vcc_lo, v12, v11
	v_add_co_ci_u32_e32 v11, vcc_lo, v13, v19, vcc_lo
	v_add_co_ci_u32_e32 v12, vcc_lo, 0, v20, vcc_lo
	v_add_co_u32 v5, vcc_lo, v5, v15
	v_add_co_ci_u32_e32 v6, vcc_lo, v6, v15, vcc_lo
	s_delay_alu instid0(VALU_DEP_4) | instskip(NEXT) | instid1(VALU_DEP_4)
	v_add_co_u32 v10, vcc_lo, v11, v10
	v_add_co_ci_u32_e32 v11, vcc_lo, 0, v12, vcc_lo
	s_delay_alu instid0(VALU_DEP_4) | instskip(NEXT) | instid1(VALU_DEP_3)
	v_xor_b32_e32 v14, v5, v15
	v_add_co_u32 v2, vcc_lo, v2, v10
	s_delay_alu instid0(VALU_DEP_3) | instskip(SKIP_1) | instid1(VALU_DEP_3)
	v_add_co_ci_u32_e32 v7, vcc_lo, v7, v11, vcc_lo
	v_xor_b32_e32 v19, v6, v15
	v_mul_hi_u32 v20, v14, v2
	s_delay_alu instid0(VALU_DEP_3) | instskip(NEXT) | instid1(VALU_DEP_3)
	v_mad_u64_u32 v[5:6], null, v14, v7, 0
	v_mad_u64_u32 v[10:11], null, v19, v2, 0
	;; [unrolled: 1-line block ×3, first 2 shown]
	s_delay_alu instid0(VALU_DEP_3) | instskip(NEXT) | instid1(VALU_DEP_4)
	v_add_co_u32 v2, vcc_lo, v20, v5
	v_add_co_ci_u32_e32 v5, vcc_lo, 0, v6, vcc_lo
	s_delay_alu instid0(VALU_DEP_2) | instskip(NEXT) | instid1(VALU_DEP_2)
	v_add_co_u32 v2, vcc_lo, v2, v10
	v_add_co_ci_u32_e32 v2, vcc_lo, v5, v11, vcc_lo
	v_add_co_ci_u32_e32 v5, vcc_lo, 0, v13, vcc_lo
	s_delay_alu instid0(VALU_DEP_2) | instskip(NEXT) | instid1(VALU_DEP_2)
	v_add_co_u32 v2, vcc_lo, v2, v12
	v_add_co_ci_u32_e32 v7, vcc_lo, 0, v5, vcc_lo
	s_delay_alu instid0(VALU_DEP_2) | instskip(SKIP_1) | instid1(VALU_DEP_3)
	v_mul_lo_u32 v10, s15, v2
	v_mad_u64_u32 v[5:6], null, s14, v2, 0
	v_mul_lo_u32 v7, s14, v7
	s_delay_alu instid0(VALU_DEP_2) | instskip(NEXT) | instid1(VALU_DEP_2)
	v_sub_co_u32 v5, vcc_lo, v14, v5
	v_add3_u32 v6, v6, v7, v10
	v_add_co_u32 v10, s2, v2, 2
	s_delay_alu instid0(VALU_DEP_2) | instskip(NEXT) | instid1(VALU_DEP_1)
	v_sub_nc_u32_e32 v7, v19, v6
	v_subrev_co_ci_u32_e64 v7, s2, s15, v7, vcc_lo
	v_sub_co_u32 v11, s2, v5, s14
	v_sub_co_ci_u32_e32 v6, vcc_lo, v19, v6, vcc_lo
	s_delay_alu instid0(VALU_DEP_3) | instskip(NEXT) | instid1(VALU_DEP_3)
	v_subrev_co_ci_u32_e64 v7, s2, 0, v7, s2
	v_cmp_le_u32_e32 vcc_lo, s14, v11
	v_cndmask_b32_e64 v11, 0, -1, vcc_lo
	s_delay_alu instid0(VALU_DEP_3)
	v_cmp_le_u32_e32 vcc_lo, s15, v7
	v_cndmask_b32_e64 v12, 0, -1, vcc_lo
	v_cmp_le_u32_e32 vcc_lo, s14, v5
	v_cndmask_b32_e64 v5, 0, -1, vcc_lo
	v_cmp_le_u32_e32 vcc_lo, s15, v6
	v_cndmask_b32_e64 v13, 0, -1, vcc_lo
	v_cmp_eq_u32_e32 vcc_lo, s15, v7
	v_cndmask_b32_e32 v7, v12, v11, vcc_lo
	v_add_co_u32 v11, vcc_lo, v2, 1
	v_cmp_eq_u32_e32 vcc_lo, s15, v6
	v_cndmask_b32_e32 v5, v13, v5, vcc_lo
	s_delay_alu instid0(VALU_DEP_4) | instskip(NEXT) | instid1(VALU_DEP_4)
	v_cmp_ne_u32_e32 vcc_lo, 0, v7
	v_cndmask_b32_e32 v6, v11, v10, vcc_lo
	s_delay_alu instid0(VALU_DEP_3) | instskip(SKIP_1) | instid1(VALU_DEP_3)
	v_cmp_ne_u32_e32 vcc_lo, 0, v5
	v_xor_b32_e32 v5, s4, v15
	v_cndmask_b32_e32 v2, v2, v6, vcc_lo
	s_delay_alu instid0(VALU_DEP_1) | instskip(NEXT) | instid1(VALU_DEP_1)
	v_xor_b32_e32 v2, v2, v5
	v_sub_co_u32 v10, vcc_lo, v2, v5
                                        ; implicit-def: $vgpr5_vgpr6
	s_and_not1_saveexec_b32 s2, s3
	s_cbranch_execz .LBB1_22
.LBB1_24:                               ;   in Loop: Header=BB1_12 Depth=1
	v_mul_hi_u32 v2, v5, v18
	s_delay_alu instid0(VALU_DEP_1) | instskip(NEXT) | instid1(VALU_DEP_1)
	v_mul_lo_u32 v6, v2, s19
	v_sub_nc_u32_e32 v5, v5, v6
	s_delay_alu instid0(VALU_DEP_1) | instskip(SKIP_1) | instid1(VALU_DEP_2)
	v_subrev_nc_u32_e32 v7, s19, v5
	v_cmp_le_u32_e32 vcc_lo, s19, v5
	v_dual_cndmask_b32 v5, v5, v7 :: v_dual_add_nc_u32 v6, 1, v2
	s_delay_alu instid0(VALU_DEP_1) | instskip(NEXT) | instid1(VALU_DEP_2)
	v_cndmask_b32_e32 v2, v2, v6, vcc_lo
	v_cmp_le_u32_e32 vcc_lo, s19, v5
	s_delay_alu instid0(VALU_DEP_2) | instskip(NEXT) | instid1(VALU_DEP_1)
	v_add_nc_u32_e32 v6, 1, v2
	v_cndmask_b32_e32 v10, v2, v6, vcc_lo
	s_or_b32 exec_lo, exec_lo, s2
	s_and_saveexec_b32 s40, s0
	s_cbranch_execz .LBB1_11
.LBB1_25:                               ;   in Loop: Header=BB1_12 Depth=1
	v_mul_lo_u32 v6, v1, s21
	v_mad_u64_u32 v[11:12], null, v4, s36, v[8:9]
	v_add_nc_u32_e32 v2, s22, v4
	s_mov_b32 s41, 0
	s_delay_alu instid0(VALU_DEP_3) | instskip(NEXT) | instid1(VALU_DEP_3)
	v_ashrrev_i32_e32 v7, 31, v6
	v_sub_nc_u32_e32 v12, v10, v11
	v_ashrrev_i32_e32 v13, 31, v11
	v_add_nc_u32_e32 v14, s37, v11
	v_mul_lo_u32 v15, s9, v11
	v_lshlrev_b64 v[9:10], 2, v[6:7]
	v_lshlrev_b64 v[6:7], 3, v[6:7]
	v_mad_u64_u32 v[4:5], null, s8, v11, s[12:13]
	v_mul_lo_u32 v11, s8, v13
	v_add_nc_u32_e32 v19, 1, v12
	v_add_co_u32 v20, vcc_lo, s24, v9
	v_add_co_ci_u32_e32 v21, vcc_lo, s25, v10, vcc_lo
	v_add_co_u32 v22, vcc_lo, s27, v6
	v_add_co_ci_u32_e32 v23, vcc_lo, s28, v7, vcc_lo
	v_mul_lo_u32 v24, v14, s18
	v_mad_u64_u32 v[6:7], null, s17, v2, v[8:9]
	v_mov_b32_e32 v2, v0
	v_cmp_lt_i32_e64 s2, 0, v19
	v_add3_u32 v5, v15, v5, v11
	s_branch .LBB1_27
.LBB1_26:                               ;   in Loop: Header=BB1_27 Depth=2
	v_lshlrev_b64 v[7:8], 2, v[2:3]
	v_lshlrev_b64 v[11:12], 3, v[2:3]
	v_add_nc_u32_e32 v2, s29, v2
	s_delay_alu instid0(VALU_DEP_3) | instskip(NEXT) | instid1(VALU_DEP_4)
	v_add_co_u32 v7, vcc_lo, v20, v7
	v_add_co_ci_u32_e32 v8, vcc_lo, v21, v8, vcc_lo
	s_delay_alu instid0(VALU_DEP_3) | instskip(SKIP_1) | instid1(VALU_DEP_1)
	v_cmp_le_i32_e32 vcc_lo, s21, v2
	v_add_co_u32 v11, s3, v22, v11
	v_add_co_ci_u32_e64 v12, s3, v23, v12, s3
	s_or_b32 s41, vcc_lo, s41
	global_store_b32 v[7:8], v25, off
	global_store_b64 v[11:12], v[9:10], off
	s_and_not1_b32 exec_lo, exec_lo, s41
	s_cbranch_execz .LBB1_11
.LBB1_27:                               ;   Parent Loop BB1_12 Depth=1
                                        ; =>  This Loop Header: Depth=2
                                        ;       Child Loop BB1_43 Depth 3
                                        ;         Child Loop BB1_46 Depth 4
                                        ;           Child Loop BB1_48 Depth 5
	v_or_b32_e64 v8, 0, s23
	v_mov_b32_e32 v7, v3
	s_delay_alu instid0(VALU_DEP_1) | instskip(SKIP_1) | instid1(SALU_CYCLE_1)
	v_cmp_ne_u64_e32 vcc_lo, 0, v[7:8]
                                        ; implicit-def: $vgpr7_vgpr8
	s_and_saveexec_b32 s3, vcc_lo
	s_xor_b32 s42, exec_lo, s3
	s_cbranch_execz .LBB1_29
; %bb.28:                               ;   in Loop: Header=BB1_27 Depth=2
	s_add_u32 s14, s34, s23
	s_mov_b32 s4, s23
	s_mov_b32 s5, s23
	s_addc_u32 s15, s23, s23
	s_delay_alu instid0(SALU_CYCLE_1) | instskip(NEXT) | instid1(SALU_CYCLE_1)
	s_xor_b64 s[14:15], s[14:15], s[4:5]
	v_cvt_f32_u32_e32 v7, s14
	v_cvt_f32_u32_e32 v8, s15
	s_sub_u32 s3, 0, s14
	s_subb_u32 s43, 0, s15
	s_delay_alu instid0(VALU_DEP_1) | instskip(NEXT) | instid1(VALU_DEP_1)
	v_fmac_f32_e32 v7, 0x4f800000, v8
	v_rcp_f32_e32 v7, v7
	s_waitcnt_depctr 0xfff
	v_mul_f32_e32 v7, 0x5f7ffffc, v7
	s_delay_alu instid0(VALU_DEP_1) | instskip(NEXT) | instid1(VALU_DEP_1)
	v_mul_f32_e32 v8, 0x2f800000, v7
	v_trunc_f32_e32 v8, v8
	s_delay_alu instid0(VALU_DEP_1) | instskip(SKIP_1) | instid1(VALU_DEP_2)
	v_fmac_f32_e32 v7, 0xcf800000, v8
	v_cvt_u32_f32_e32 v8, v8
	v_cvt_u32_f32_e32 v7, v7
	s_delay_alu instid0(VALU_DEP_2) | instskip(NEXT) | instid1(VALU_DEP_2)
	v_mul_lo_u32 v9, s3, v8
	v_mul_hi_u32 v10, s3, v7
	v_mul_lo_u32 v11, s43, v7
	s_delay_alu instid0(VALU_DEP_2) | instskip(SKIP_1) | instid1(VALU_DEP_2)
	v_add_nc_u32_e32 v9, v10, v9
	v_mul_lo_u32 v10, s3, v7
	v_add_nc_u32_e32 v9, v9, v11
	s_delay_alu instid0(VALU_DEP_2) | instskip(NEXT) | instid1(VALU_DEP_2)
	v_mul_hi_u32 v11, v7, v10
	v_mul_lo_u32 v12, v7, v9
	v_mul_hi_u32 v13, v7, v9
	v_mul_hi_u32 v14, v8, v10
	v_mul_lo_u32 v10, v8, v10
	v_mul_hi_u32 v15, v8, v9
	v_mul_lo_u32 v9, v8, v9
	v_add_co_u32 v11, vcc_lo, v11, v12
	v_add_co_ci_u32_e32 v12, vcc_lo, 0, v13, vcc_lo
	s_delay_alu instid0(VALU_DEP_2) | instskip(NEXT) | instid1(VALU_DEP_2)
	v_add_co_u32 v10, vcc_lo, v11, v10
	v_add_co_ci_u32_e32 v10, vcc_lo, v12, v14, vcc_lo
	v_add_co_ci_u32_e32 v11, vcc_lo, 0, v15, vcc_lo
	v_ashrrev_i32_e64 v14, 31, 0
	s_delay_alu instid0(VALU_DEP_3) | instskip(NEXT) | instid1(VALU_DEP_3)
	v_add_co_u32 v9, vcc_lo, v10, v9
	v_add_co_ci_u32_e32 v10, vcc_lo, 0, v11, vcc_lo
	s_delay_alu instid0(VALU_DEP_2) | instskip(NEXT) | instid1(VALU_DEP_2)
	v_add_co_u32 v7, vcc_lo, v7, v9
	v_add_co_ci_u32_e32 v8, vcc_lo, v8, v10, vcc_lo
	s_delay_alu instid0(VALU_DEP_2) | instskip(SKIP_1) | instid1(VALU_DEP_3)
	v_mul_hi_u32 v9, s3, v7
	v_mul_lo_u32 v11, s43, v7
	v_mul_lo_u32 v10, s3, v8
	s_delay_alu instid0(VALU_DEP_1) | instskip(SKIP_1) | instid1(VALU_DEP_2)
	v_add_nc_u32_e32 v9, v9, v10
	v_mul_lo_u32 v10, s3, v7
	v_add_nc_u32_e32 v9, v9, v11
	s_delay_alu instid0(VALU_DEP_2) | instskip(NEXT) | instid1(VALU_DEP_2)
	v_mul_hi_u32 v11, v7, v10
	v_mul_lo_u32 v12, v7, v9
	v_mul_hi_u32 v13, v7, v9
	v_mul_hi_u32 v15, v8, v10
	v_mul_lo_u32 v10, v8, v10
	v_mul_hi_u32 v25, v8, v9
	v_mul_lo_u32 v9, v8, v9
	v_add_co_u32 v11, vcc_lo, v11, v12
	v_add_co_ci_u32_e32 v12, vcc_lo, 0, v13, vcc_lo
	s_delay_alu instid0(VALU_DEP_2) | instskip(NEXT) | instid1(VALU_DEP_2)
	v_add_co_u32 v10, vcc_lo, v11, v10
	v_add_co_ci_u32_e32 v10, vcc_lo, v12, v15, vcc_lo
	v_add_co_ci_u32_e32 v11, vcc_lo, 0, v25, vcc_lo
	v_add_co_u32 v12, vcc_lo, v2, v14
	v_add_co_ci_u32_e32 v13, vcc_lo, 0, v14, vcc_lo
	s_delay_alu instid0(VALU_DEP_4) | instskip(NEXT) | instid1(VALU_DEP_4)
	v_add_co_u32 v9, vcc_lo, v10, v9
	v_add_co_ci_u32_e32 v10, vcc_lo, 0, v11, vcc_lo
	s_delay_alu instid0(VALU_DEP_4) | instskip(NEXT) | instid1(VALU_DEP_3)
	v_xor_b32_e32 v15, v12, v14
	v_add_co_u32 v11, vcc_lo, v7, v9
	s_delay_alu instid0(VALU_DEP_3) | instskip(SKIP_1) | instid1(VALU_DEP_3)
	v_add_co_ci_u32_e32 v25, vcc_lo, v8, v10, vcc_lo
	v_xor_b32_e32 v13, v13, v14
	v_mul_hi_u32 v26, v15, v11
	s_delay_alu instid0(VALU_DEP_3) | instskip(NEXT) | instid1(VALU_DEP_3)
	v_mad_u64_u32 v[7:8], null, v15, v25, 0
	v_mad_u64_u32 v[9:10], null, v13, v11, 0
	;; [unrolled: 1-line block ×3, first 2 shown]
	s_delay_alu instid0(VALU_DEP_3) | instskip(NEXT) | instid1(VALU_DEP_4)
	v_add_co_u32 v7, vcc_lo, v26, v7
	v_add_co_ci_u32_e32 v8, vcc_lo, 0, v8, vcc_lo
	s_delay_alu instid0(VALU_DEP_2) | instskip(NEXT) | instid1(VALU_DEP_2)
	v_add_co_u32 v7, vcc_lo, v7, v9
	v_add_co_ci_u32_e32 v7, vcc_lo, v8, v10, vcc_lo
	v_add_co_ci_u32_e32 v8, vcc_lo, 0, v12, vcc_lo
	s_delay_alu instid0(VALU_DEP_2) | instskip(NEXT) | instid1(VALU_DEP_2)
	v_add_co_u32 v9, vcc_lo, v7, v11
	v_add_co_ci_u32_e32 v10, vcc_lo, 0, v8, vcc_lo
	s_delay_alu instid0(VALU_DEP_2) | instskip(SKIP_1) | instid1(VALU_DEP_3)
	v_mul_lo_u32 v11, s15, v9
	v_mad_u64_u32 v[7:8], null, s14, v9, 0
	v_mul_lo_u32 v12, s14, v10
	s_delay_alu instid0(VALU_DEP_2) | instskip(NEXT) | instid1(VALU_DEP_2)
	v_sub_co_u32 v7, vcc_lo, v15, v7
	v_add3_u32 v8, v8, v12, v11
	s_delay_alu instid0(VALU_DEP_1) | instskip(NEXT) | instid1(VALU_DEP_1)
	v_sub_nc_u32_e32 v11, v13, v8
	v_subrev_co_ci_u32_e64 v11, s3, s15, v11, vcc_lo
	v_add_co_u32 v12, s3, v9, 2
	s_delay_alu instid0(VALU_DEP_1) | instskip(SKIP_3) | instid1(VALU_DEP_3)
	v_add_co_ci_u32_e64 v15, s3, 0, v10, s3
	v_sub_co_u32 v25, s3, v7, s14
	v_sub_co_ci_u32_e32 v8, vcc_lo, v13, v8, vcc_lo
	v_subrev_co_ci_u32_e64 v11, s3, 0, v11, s3
	v_cmp_le_u32_e32 vcc_lo, s14, v25
	s_delay_alu instid0(VALU_DEP_3) | instskip(SKIP_1) | instid1(VALU_DEP_4)
	v_cmp_eq_u32_e64 s3, s15, v8
	v_cndmask_b32_e64 v13, 0, -1, vcc_lo
	v_cmp_le_u32_e32 vcc_lo, s15, v11
	v_cndmask_b32_e64 v25, 0, -1, vcc_lo
	v_cmp_le_u32_e32 vcc_lo, s14, v7
	;; [unrolled: 2-line block ×3, first 2 shown]
	v_cndmask_b32_e64 v26, 0, -1, vcc_lo
	v_cmp_eq_u32_e32 vcc_lo, s15, v11
	s_delay_alu instid0(VALU_DEP_2) | instskip(SKIP_3) | instid1(VALU_DEP_3)
	v_cndmask_b32_e64 v7, v26, v7, s3
	v_cndmask_b32_e32 v11, v25, v13, vcc_lo
	v_add_co_u32 v13, vcc_lo, v9, 1
	v_add_co_ci_u32_e32 v25, vcc_lo, 0, v10, vcc_lo
	v_cmp_ne_u32_e32 vcc_lo, 0, v11
	s_delay_alu instid0(VALU_DEP_2) | instskip(NEXT) | instid1(VALU_DEP_4)
	v_cndmask_b32_e32 v8, v25, v15, vcc_lo
	v_cndmask_b32_e32 v11, v13, v12, vcc_lo
	v_cmp_ne_u32_e32 vcc_lo, 0, v7
	v_xor_b32_e32 v7, s4, v14
	s_delay_alu instid0(VALU_DEP_3) | instskip(SKIP_1) | instid1(VALU_DEP_2)
	v_dual_cndmask_b32 v9, v9, v11 :: v_dual_cndmask_b32 v8, v10, v8
	v_xor_b32_e32 v10, s5, v14
	v_xor_b32_e32 v9, v9, v7
	s_delay_alu instid0(VALU_DEP_2) | instskip(NEXT) | instid1(VALU_DEP_2)
	v_xor_b32_e32 v8, v8, v10
	v_sub_co_u32 v7, vcc_lo, v9, v7
	s_delay_alu instid0(VALU_DEP_2)
	v_sub_co_ci_u32_e32 v8, vcc_lo, v8, v10, vcc_lo
.LBB1_29:                               ;   in Loop: Header=BB1_27 Depth=2
	s_or_saveexec_b32 s3, s42
	v_cvt_f32_u32_e32 v14, s34
	s_xor_b32 exec_lo, exec_lo, s3
	s_cbranch_execz .LBB1_31
; %bb.30:                               ;   in Loop: Header=BB1_27 Depth=2
	s_delay_alu instid0(VALU_DEP_1) | instskip(SKIP_3) | instid1(VALU_DEP_1)
	v_rcp_iflag_f32_e32 v7, v14
	s_sub_i32 s4, 0, s34
	s_waitcnt_depctr 0xfff
	v_mul_f32_e32 v7, 0x4f7ffffe, v7
	v_cvt_u32_f32_e32 v7, v7
	s_delay_alu instid0(VALU_DEP_1) | instskip(NEXT) | instid1(VALU_DEP_1)
	v_mul_lo_u32 v8, s4, v7
	v_mul_hi_u32 v8, v7, v8
	s_delay_alu instid0(VALU_DEP_1) | instskip(NEXT) | instid1(VALU_DEP_1)
	v_add_nc_u32_e32 v7, v7, v8
	v_mul_hi_u32 v7, v2, v7
	s_delay_alu instid0(VALU_DEP_1) | instskip(SKIP_1) | instid1(VALU_DEP_2)
	v_mul_lo_u32 v8, v7, s34
	v_add_nc_u32_e32 v9, 1, v7
	v_sub_nc_u32_e32 v8, v2, v8
	s_delay_alu instid0(VALU_DEP_1) | instskip(SKIP_1) | instid1(VALU_DEP_2)
	v_subrev_nc_u32_e32 v10, s34, v8
	v_cmp_le_u32_e32 vcc_lo, s34, v8
	v_dual_cndmask_b32 v8, v8, v10 :: v_dual_cndmask_b32 v7, v7, v9
	s_delay_alu instid0(VALU_DEP_1) | instskip(NEXT) | instid1(VALU_DEP_2)
	v_cmp_le_u32_e32 vcc_lo, s34, v8
	v_dual_mov_b32 v8, v3 :: v_dual_add_nc_u32 v9, 1, v7
	s_delay_alu instid0(VALU_DEP_1)
	v_cndmask_b32_e32 v7, v7, v9, vcc_lo
.LBB1_31:                               ;   in Loop: Header=BB1_27 Depth=2
	s_or_b32 exec_lo, exec_lo, s3
	s_delay_alu instid0(VALU_DEP_2) | instskip(NEXT) | instid1(VALU_DEP_2)
	v_mul_lo_u32 v10, v8, s34
	v_mul_lo_u32 v11, v7, s23
	v_mad_u64_u32 v[8:9], null, v7, s34, 0
	s_delay_alu instid0(VALU_DEP_1) | instskip(NEXT) | instid1(VALU_DEP_2)
	v_add3_u32 v9, v9, v11, v10
	v_sub_co_u32 v8, vcc_lo, v2, v8
	s_delay_alu instid0(VALU_DEP_2) | instskip(NEXT) | instid1(VALU_DEP_2)
	v_sub_co_ci_u32_e32 v9, vcc_lo, 0, v9, vcc_lo
	v_mul_lo_u32 v12, v8, s26
	v_mad_u64_u32 v[10:11], null, v8, s18, 0
	s_delay_alu instid0(VALU_DEP_3) | instskip(NEXT) | instid1(VALU_DEP_1)
	v_mul_lo_u32 v8, v9, s18
	v_add3_u32 v11, v11, v12, v8
	v_mov_b32_e32 v8, v3
	s_delay_alu instid0(VALU_DEP_2) | instskip(NEXT) | instid1(VALU_DEP_1)
	v_or_b32_e32 v9, s23, v11
	v_cmp_ne_u64_e32 vcc_lo, 0, v[8:9]
                                        ; implicit-def: $vgpr8_vgpr9
	s_and_saveexec_b32 s3, vcc_lo
	s_delay_alu instid0(SALU_CYCLE_1)
	s_xor_b32 s42, exec_lo, s3
	s_cbranch_execz .LBB1_33
; %bb.32:                               ;   in Loop: Header=BB1_27 Depth=2
	s_add_u32 s14, s34, s23
	s_mov_b32 s4, s23
	s_mov_b32 s5, s23
	s_addc_u32 s15, s23, s23
	s_delay_alu instid0(SALU_CYCLE_1) | instskip(NEXT) | instid1(SALU_CYCLE_1)
	s_xor_b64 s[14:15], s[14:15], s[4:5]
	v_cvt_f32_u32_e32 v8, s14
	v_cvt_f32_u32_e32 v9, s15
	s_sub_u32 s3, 0, s14
	s_subb_u32 s43, 0, s15
	s_delay_alu instid0(VALU_DEP_1) | instskip(NEXT) | instid1(VALU_DEP_1)
	v_fmac_f32_e32 v8, 0x4f800000, v9
	v_rcp_f32_e32 v8, v8
	s_waitcnt_depctr 0xfff
	v_mul_f32_e32 v8, 0x5f7ffffc, v8
	s_delay_alu instid0(VALU_DEP_1) | instskip(NEXT) | instid1(VALU_DEP_1)
	v_mul_f32_e32 v9, 0x2f800000, v8
	v_trunc_f32_e32 v9, v9
	s_delay_alu instid0(VALU_DEP_1) | instskip(SKIP_1) | instid1(VALU_DEP_2)
	v_fmac_f32_e32 v8, 0xcf800000, v9
	v_cvt_u32_f32_e32 v9, v9
	v_cvt_u32_f32_e32 v8, v8
	s_delay_alu instid0(VALU_DEP_2) | instskip(NEXT) | instid1(VALU_DEP_2)
	v_mul_lo_u32 v12, s3, v9
	v_mul_hi_u32 v13, s3, v8
	v_mul_lo_u32 v15, s43, v8
	s_delay_alu instid0(VALU_DEP_2) | instskip(SKIP_1) | instid1(VALU_DEP_2)
	v_add_nc_u32_e32 v12, v13, v12
	v_mul_lo_u32 v13, s3, v8
	v_add_nc_u32_e32 v12, v12, v15
	s_delay_alu instid0(VALU_DEP_2) | instskip(NEXT) | instid1(VALU_DEP_2)
	v_mul_hi_u32 v15, v8, v13
	v_mul_lo_u32 v25, v8, v12
	v_mul_hi_u32 v26, v8, v12
	v_mul_hi_u32 v27, v9, v13
	v_mul_lo_u32 v13, v9, v13
	v_mul_hi_u32 v28, v9, v12
	v_mul_lo_u32 v12, v9, v12
	v_add_co_u32 v15, vcc_lo, v15, v25
	v_add_co_ci_u32_e32 v25, vcc_lo, 0, v26, vcc_lo
	s_delay_alu instid0(VALU_DEP_2) | instskip(NEXT) | instid1(VALU_DEP_2)
	v_add_co_u32 v13, vcc_lo, v15, v13
	v_add_co_ci_u32_e32 v13, vcc_lo, v25, v27, vcc_lo
	v_add_co_ci_u32_e32 v15, vcc_lo, 0, v28, vcc_lo
	v_ashrrev_i32_e32 v27, 31, v11
	s_delay_alu instid0(VALU_DEP_3) | instskip(NEXT) | instid1(VALU_DEP_3)
	v_add_co_u32 v12, vcc_lo, v13, v12
	v_add_co_ci_u32_e32 v13, vcc_lo, 0, v15, vcc_lo
	s_delay_alu instid0(VALU_DEP_2) | instskip(NEXT) | instid1(VALU_DEP_2)
	v_add_co_u32 v8, vcc_lo, v8, v12
	v_add_co_ci_u32_e32 v9, vcc_lo, v9, v13, vcc_lo
	s_delay_alu instid0(VALU_DEP_2) | instskip(SKIP_1) | instid1(VALU_DEP_3)
	v_mul_hi_u32 v12, s3, v8
	v_mul_lo_u32 v15, s43, v8
	v_mul_lo_u32 v13, s3, v9
	s_delay_alu instid0(VALU_DEP_1) | instskip(SKIP_1) | instid1(VALU_DEP_2)
	v_add_nc_u32_e32 v12, v12, v13
	v_mul_lo_u32 v13, s3, v8
	v_add_nc_u32_e32 v12, v12, v15
	s_delay_alu instid0(VALU_DEP_2) | instskip(NEXT) | instid1(VALU_DEP_2)
	v_mul_hi_u32 v15, v8, v13
	v_mul_lo_u32 v25, v8, v12
	v_mul_hi_u32 v26, v8, v12
	v_mul_hi_u32 v28, v9, v13
	v_mul_lo_u32 v13, v9, v13
	v_mul_hi_u32 v29, v9, v12
	v_mul_lo_u32 v12, v9, v12
	v_add_co_u32 v15, vcc_lo, v15, v25
	v_add_co_ci_u32_e32 v25, vcc_lo, 0, v26, vcc_lo
	s_delay_alu instid0(VALU_DEP_2) | instskip(NEXT) | instid1(VALU_DEP_2)
	v_add_co_u32 v13, vcc_lo, v15, v13
	v_add_co_ci_u32_e32 v13, vcc_lo, v25, v28, vcc_lo
	v_add_co_ci_u32_e32 v15, vcc_lo, 0, v29, vcc_lo
	v_add_co_u32 v10, vcc_lo, v10, v27
	v_add_co_ci_u32_e32 v11, vcc_lo, v11, v27, vcc_lo
	s_delay_alu instid0(VALU_DEP_4) | instskip(NEXT) | instid1(VALU_DEP_4)
	v_add_co_u32 v12, vcc_lo, v13, v12
	v_add_co_ci_u32_e32 v13, vcc_lo, 0, v15, vcc_lo
	s_delay_alu instid0(VALU_DEP_4) | instskip(NEXT) | instid1(VALU_DEP_3)
	v_xor_b32_e32 v15, v10, v27
	v_add_co_u32 v12, vcc_lo, v8, v12
	s_delay_alu instid0(VALU_DEP_3) | instskip(SKIP_1) | instid1(VALU_DEP_3)
	v_add_co_ci_u32_e32 v25, vcc_lo, v9, v13, vcc_lo
	v_xor_b32_e32 v26, v11, v27
	v_mul_hi_u32 v28, v15, v12
	s_delay_alu instid0(VALU_DEP_3) | instskip(NEXT) | instid1(VALU_DEP_3)
	v_mad_u64_u32 v[8:9], null, v15, v25, 0
	v_mad_u64_u32 v[10:11], null, v26, v12, 0
	;; [unrolled: 1-line block ×3, first 2 shown]
	s_delay_alu instid0(VALU_DEP_3) | instskip(NEXT) | instid1(VALU_DEP_4)
	v_add_co_u32 v8, vcc_lo, v28, v8
	v_add_co_ci_u32_e32 v9, vcc_lo, 0, v9, vcc_lo
	s_delay_alu instid0(VALU_DEP_2) | instskip(NEXT) | instid1(VALU_DEP_2)
	v_add_co_u32 v8, vcc_lo, v8, v10
	v_add_co_ci_u32_e32 v8, vcc_lo, v9, v11, vcc_lo
	v_add_co_ci_u32_e32 v9, vcc_lo, 0, v13, vcc_lo
	s_delay_alu instid0(VALU_DEP_2) | instskip(NEXT) | instid1(VALU_DEP_2)
	v_add_co_u32 v10, vcc_lo, v8, v12
	v_add_co_ci_u32_e32 v11, vcc_lo, 0, v9, vcc_lo
	s_delay_alu instid0(VALU_DEP_2) | instskip(SKIP_1) | instid1(VALU_DEP_3)
	v_mul_lo_u32 v12, s15, v10
	v_mad_u64_u32 v[8:9], null, s14, v10, 0
	v_mul_lo_u32 v13, s14, v11
	s_delay_alu instid0(VALU_DEP_2) | instskip(NEXT) | instid1(VALU_DEP_2)
	v_sub_co_u32 v8, vcc_lo, v15, v8
	v_add3_u32 v9, v9, v13, v12
	s_delay_alu instid0(VALU_DEP_1) | instskip(NEXT) | instid1(VALU_DEP_1)
	v_sub_nc_u32_e32 v12, v26, v9
	v_subrev_co_ci_u32_e64 v12, s3, s15, v12, vcc_lo
	v_add_co_u32 v13, s3, v10, 2
	s_delay_alu instid0(VALU_DEP_1) | instskip(SKIP_3) | instid1(VALU_DEP_3)
	v_add_co_ci_u32_e64 v15, s3, 0, v11, s3
	v_sub_co_u32 v25, s3, v8, s14
	v_sub_co_ci_u32_e32 v9, vcc_lo, v26, v9, vcc_lo
	v_subrev_co_ci_u32_e64 v12, s3, 0, v12, s3
	v_cmp_le_u32_e32 vcc_lo, s14, v25
	s_delay_alu instid0(VALU_DEP_3) | instskip(SKIP_1) | instid1(VALU_DEP_4)
	v_cmp_eq_u32_e64 s3, s15, v9
	v_cndmask_b32_e64 v25, 0, -1, vcc_lo
	v_cmp_le_u32_e32 vcc_lo, s15, v12
	v_cndmask_b32_e64 v26, 0, -1, vcc_lo
	v_cmp_le_u32_e32 vcc_lo, s14, v8
	;; [unrolled: 2-line block ×3, first 2 shown]
	v_cndmask_b32_e64 v28, 0, -1, vcc_lo
	v_cmp_eq_u32_e32 vcc_lo, s15, v12
	s_delay_alu instid0(VALU_DEP_2) | instskip(SKIP_3) | instid1(VALU_DEP_3)
	v_cndmask_b32_e64 v8, v28, v8, s3
	v_cndmask_b32_e32 v12, v26, v25, vcc_lo
	v_add_co_u32 v25, vcc_lo, v10, 1
	v_add_co_ci_u32_e32 v26, vcc_lo, 0, v11, vcc_lo
	v_cmp_ne_u32_e32 vcc_lo, 0, v12
	s_delay_alu instid0(VALU_DEP_2) | instskip(SKIP_2) | instid1(VALU_DEP_3)
	v_dual_cndmask_b32 v9, v26, v15 :: v_dual_cndmask_b32 v12, v25, v13
	v_cmp_ne_u32_e32 vcc_lo, 0, v8
	v_xor_b32_e32 v8, s4, v27
	v_dual_cndmask_b32 v10, v10, v12 :: v_dual_cndmask_b32 v9, v11, v9
	v_xor_b32_e32 v11, s5, v27
	s_delay_alu instid0(VALU_DEP_2) | instskip(NEXT) | instid1(VALU_DEP_2)
	v_xor_b32_e32 v10, v10, v8
	v_xor_b32_e32 v9, v9, v11
	s_delay_alu instid0(VALU_DEP_2) | instskip(NEXT) | instid1(VALU_DEP_2)
	v_sub_co_u32 v8, vcc_lo, v10, v8
	v_sub_co_ci_u32_e32 v9, vcc_lo, v9, v11, vcc_lo
                                        ; implicit-def: $vgpr10_vgpr11
.LBB1_33:                               ;   in Loop: Header=BB1_27 Depth=2
	s_and_not1_saveexec_b32 s3, s42
	s_cbranch_execz .LBB1_35
; %bb.34:                               ;   in Loop: Header=BB1_27 Depth=2
	v_rcp_iflag_f32_e32 v8, v14
	s_sub_i32 s4, 0, s34
	s_waitcnt_depctr 0xfff
	v_mul_f32_e32 v8, 0x4f7ffffe, v8
	s_delay_alu instid0(VALU_DEP_1) | instskip(NEXT) | instid1(VALU_DEP_1)
	v_cvt_u32_f32_e32 v8, v8
	v_mul_lo_u32 v9, s4, v8
	s_delay_alu instid0(VALU_DEP_1) | instskip(NEXT) | instid1(VALU_DEP_1)
	v_mul_hi_u32 v9, v8, v9
	v_add_nc_u32_e32 v8, v8, v9
	s_delay_alu instid0(VALU_DEP_1) | instskip(NEXT) | instid1(VALU_DEP_1)
	v_mul_hi_u32 v8, v10, v8
	v_mul_lo_u32 v9, v8, s34
	s_delay_alu instid0(VALU_DEP_1) | instskip(SKIP_1) | instid1(VALU_DEP_2)
	v_sub_nc_u32_e32 v9, v10, v9
	v_add_nc_u32_e32 v10, 1, v8
	v_subrev_nc_u32_e32 v11, s34, v9
	v_cmp_le_u32_e32 vcc_lo, s34, v9
	s_delay_alu instid0(VALU_DEP_2) | instskip(NEXT) | instid1(VALU_DEP_1)
	v_dual_cndmask_b32 v9, v9, v11 :: v_dual_cndmask_b32 v8, v8, v10
	v_cmp_le_u32_e32 vcc_lo, s34, v9
	s_delay_alu instid0(VALU_DEP_2) | instskip(NEXT) | instid1(VALU_DEP_1)
	v_dual_mov_b32 v9, v3 :: v_dual_add_nc_u32 v10, 1, v8
	v_cndmask_b32_e32 v8, v8, v10, vcc_lo
.LBB1_35:                               ;   in Loop: Header=BB1_27 Depth=2
	s_or_b32 exec_lo, exec_lo, s3
	v_add_co_u32 v12, s3, v2, 1
	s_delay_alu instid0(VALU_DEP_1) | instskip(NEXT) | instid1(VALU_DEP_2)
	v_add_co_ci_u32_e64 v10, null, 0, 0, s3
	v_mul_lo_u32 v13, v12, s26
	s_delay_alu instid0(VALU_DEP_2) | instskip(SKIP_2) | instid1(VALU_DEP_2)
	v_mul_lo_u32 v15, v10, s18
	v_mad_u64_u32 v[10:11], null, v12, s18, -1
	v_mov_b32_e32 v12, v3
	v_add3_u32 v11, v15, v11, v13
	s_delay_alu instid0(VALU_DEP_1) | instskip(NEXT) | instid1(VALU_DEP_1)
	v_or_b32_e32 v13, s23, v11
	v_cmp_ne_u64_e32 vcc_lo, 0, v[12:13]
                                        ; implicit-def: $vgpr12_vgpr13
	s_and_saveexec_b32 s3, vcc_lo
	s_delay_alu instid0(SALU_CYCLE_1)
	s_xor_b32 s42, exec_lo, s3
	s_cbranch_execz .LBB1_37
; %bb.36:                               ;   in Loop: Header=BB1_27 Depth=2
	s_add_u32 s14, s34, s23
	s_mov_b32 s4, s23
	s_mov_b32 s5, s23
	s_addc_u32 s15, s23, s23
	s_delay_alu instid0(SALU_CYCLE_1) | instskip(NEXT) | instid1(SALU_CYCLE_1)
	s_xor_b64 s[14:15], s[14:15], s[4:5]
	v_cvt_f32_u32_e32 v12, s14
	v_cvt_f32_u32_e32 v13, s15
	s_sub_u32 s3, 0, s14
	s_subb_u32 s5, 0, s15
	s_delay_alu instid0(VALU_DEP_1) | instskip(NEXT) | instid1(VALU_DEP_1)
	v_fmac_f32_e32 v12, 0x4f800000, v13
	v_rcp_f32_e32 v12, v12
	s_waitcnt_depctr 0xfff
	v_mul_f32_e32 v12, 0x5f7ffffc, v12
	s_delay_alu instid0(VALU_DEP_1) | instskip(NEXT) | instid1(VALU_DEP_1)
	v_mul_f32_e32 v13, 0x2f800000, v12
	v_trunc_f32_e32 v13, v13
	s_delay_alu instid0(VALU_DEP_1) | instskip(SKIP_1) | instid1(VALU_DEP_2)
	v_fmac_f32_e32 v12, 0xcf800000, v13
	v_cvt_u32_f32_e32 v13, v13
	v_cvt_u32_f32_e32 v12, v12
	s_delay_alu instid0(VALU_DEP_2) | instskip(NEXT) | instid1(VALU_DEP_2)
	v_mul_lo_u32 v14, s3, v13
	v_mul_hi_u32 v15, s3, v12
	v_mul_lo_u32 v25, s5, v12
	s_delay_alu instid0(VALU_DEP_2) | instskip(SKIP_1) | instid1(VALU_DEP_2)
	v_add_nc_u32_e32 v14, v15, v14
	v_mul_lo_u32 v15, s3, v12
	v_add_nc_u32_e32 v14, v14, v25
	s_delay_alu instid0(VALU_DEP_2) | instskip(NEXT) | instid1(VALU_DEP_2)
	v_mul_hi_u32 v25, v12, v15
	v_mul_lo_u32 v26, v12, v14
	v_mul_hi_u32 v27, v12, v14
	v_mul_hi_u32 v28, v13, v15
	v_mul_lo_u32 v15, v13, v15
	v_mul_hi_u32 v29, v13, v14
	v_mul_lo_u32 v14, v13, v14
	v_add_co_u32 v25, vcc_lo, v25, v26
	v_add_co_ci_u32_e32 v26, vcc_lo, 0, v27, vcc_lo
	s_delay_alu instid0(VALU_DEP_2) | instskip(NEXT) | instid1(VALU_DEP_2)
	v_add_co_u32 v15, vcc_lo, v25, v15
	v_add_co_ci_u32_e32 v15, vcc_lo, v26, v28, vcc_lo
	v_add_co_ci_u32_e32 v25, vcc_lo, 0, v29, vcc_lo
	v_ashrrev_i32_e32 v28, 31, v11
	s_delay_alu instid0(VALU_DEP_3) | instskip(NEXT) | instid1(VALU_DEP_3)
	v_add_co_u32 v14, vcc_lo, v15, v14
	v_add_co_ci_u32_e32 v15, vcc_lo, 0, v25, vcc_lo
	s_delay_alu instid0(VALU_DEP_2) | instskip(NEXT) | instid1(VALU_DEP_2)
	v_add_co_u32 v12, vcc_lo, v12, v14
	v_add_co_ci_u32_e32 v13, vcc_lo, v13, v15, vcc_lo
	s_delay_alu instid0(VALU_DEP_2) | instskip(SKIP_1) | instid1(VALU_DEP_3)
	v_mul_hi_u32 v14, s3, v12
	v_mul_lo_u32 v25, s5, v12
	v_mul_lo_u32 v15, s3, v13
	s_delay_alu instid0(VALU_DEP_1) | instskip(SKIP_1) | instid1(VALU_DEP_2)
	v_add_nc_u32_e32 v14, v14, v15
	v_mul_lo_u32 v15, s3, v12
	v_add_nc_u32_e32 v14, v14, v25
	s_delay_alu instid0(VALU_DEP_2) | instskip(NEXT) | instid1(VALU_DEP_2)
	v_mul_hi_u32 v25, v12, v15
	v_mul_lo_u32 v26, v12, v14
	v_mul_hi_u32 v27, v12, v14
	v_mul_hi_u32 v29, v13, v15
	v_mul_lo_u32 v15, v13, v15
	v_mul_hi_u32 v30, v13, v14
	v_mul_lo_u32 v14, v13, v14
	v_add_co_u32 v25, vcc_lo, v25, v26
	v_add_co_ci_u32_e32 v26, vcc_lo, 0, v27, vcc_lo
	s_delay_alu instid0(VALU_DEP_2) | instskip(NEXT) | instid1(VALU_DEP_2)
	v_add_co_u32 v15, vcc_lo, v25, v15
	v_add_co_ci_u32_e32 v15, vcc_lo, v26, v29, vcc_lo
	v_add_co_ci_u32_e32 v25, vcc_lo, 0, v30, vcc_lo
	v_add_co_u32 v10, vcc_lo, v10, v28
	v_add_co_ci_u32_e32 v11, vcc_lo, v11, v28, vcc_lo
	s_delay_alu instid0(VALU_DEP_4) | instskip(NEXT) | instid1(VALU_DEP_4)
	v_add_co_u32 v14, vcc_lo, v15, v14
	v_add_co_ci_u32_e32 v15, vcc_lo, 0, v25, vcc_lo
	s_delay_alu instid0(VALU_DEP_4) | instskip(NEXT) | instid1(VALU_DEP_3)
	v_xor_b32_e32 v25, v10, v28
	v_add_co_u32 v14, vcc_lo, v12, v14
	s_delay_alu instid0(VALU_DEP_3) | instskip(SKIP_1) | instid1(VALU_DEP_3)
	v_add_co_ci_u32_e32 v26, vcc_lo, v13, v15, vcc_lo
	v_xor_b32_e32 v27, v11, v28
	v_mul_hi_u32 v29, v25, v14
	s_delay_alu instid0(VALU_DEP_3) | instskip(NEXT) | instid1(VALU_DEP_3)
	v_mad_u64_u32 v[10:11], null, v25, v26, 0
	v_mad_u64_u32 v[12:13], null, v27, v14, 0
	;; [unrolled: 1-line block ×3, first 2 shown]
	s_delay_alu instid0(VALU_DEP_3) | instskip(NEXT) | instid1(VALU_DEP_4)
	v_add_co_u32 v10, vcc_lo, v29, v10
	v_add_co_ci_u32_e32 v11, vcc_lo, 0, v11, vcc_lo
	s_delay_alu instid0(VALU_DEP_2) | instskip(NEXT) | instid1(VALU_DEP_2)
	v_add_co_u32 v10, vcc_lo, v10, v12
	v_add_co_ci_u32_e32 v10, vcc_lo, v11, v13, vcc_lo
	v_add_co_ci_u32_e32 v11, vcc_lo, 0, v15, vcc_lo
	s_delay_alu instid0(VALU_DEP_2) | instskip(NEXT) | instid1(VALU_DEP_2)
	v_add_co_u32 v12, vcc_lo, v10, v14
	v_add_co_ci_u32_e32 v13, vcc_lo, 0, v11, vcc_lo
	s_delay_alu instid0(VALU_DEP_2) | instskip(SKIP_1) | instid1(VALU_DEP_3)
	v_mul_lo_u32 v14, s15, v12
	v_mad_u64_u32 v[10:11], null, s14, v12, 0
	v_mul_lo_u32 v13, s14, v13
	s_delay_alu instid0(VALU_DEP_2) | instskip(NEXT) | instid1(VALU_DEP_2)
	v_sub_co_u32 v10, vcc_lo, v25, v10
	v_add3_u32 v11, v11, v13, v14
	v_add_co_u32 v14, s3, v12, 2
	s_delay_alu instid0(VALU_DEP_2) | instskip(NEXT) | instid1(VALU_DEP_1)
	v_sub_nc_u32_e32 v13, v27, v11
	v_subrev_co_ci_u32_e64 v13, s3, s15, v13, vcc_lo
	v_sub_co_u32 v15, s3, v10, s14
	v_sub_co_ci_u32_e32 v11, vcc_lo, v27, v11, vcc_lo
	s_delay_alu instid0(VALU_DEP_3) | instskip(NEXT) | instid1(VALU_DEP_3)
	v_subrev_co_ci_u32_e64 v13, s3, 0, v13, s3
	v_cmp_le_u32_e32 vcc_lo, s14, v15
	v_cndmask_b32_e64 v15, 0, -1, vcc_lo
	s_delay_alu instid0(VALU_DEP_3)
	v_cmp_le_u32_e32 vcc_lo, s15, v13
	v_cndmask_b32_e64 v25, 0, -1, vcc_lo
	v_cmp_le_u32_e32 vcc_lo, s14, v10
	v_cndmask_b32_e64 v10, 0, -1, vcc_lo
	;; [unrolled: 2-line block ×3, first 2 shown]
	v_cmp_eq_u32_e32 vcc_lo, s15, v13
	v_cndmask_b32_e32 v13, v25, v15, vcc_lo
	v_add_co_u32 v15, vcc_lo, v12, 1
	v_cmp_eq_u32_e32 vcc_lo, s15, v11
	v_cndmask_b32_e32 v10, v26, v10, vcc_lo
	s_delay_alu instid0(VALU_DEP_4) | instskip(NEXT) | instid1(VALU_DEP_4)
	v_cmp_ne_u32_e32 vcc_lo, 0, v13
	v_cndmask_b32_e32 v11, v15, v14, vcc_lo
	s_delay_alu instid0(VALU_DEP_3) | instskip(NEXT) | instid1(VALU_DEP_2)
	v_cmp_ne_u32_e32 vcc_lo, 0, v10
                                        ; implicit-def: $vgpr14
	v_cndmask_b32_e32 v10, v12, v11, vcc_lo
	v_xor_b32_e32 v11, s4, v28
	s_delay_alu instid0(VALU_DEP_1) | instskip(NEXT) | instid1(VALU_DEP_1)
	v_xor_b32_e32 v10, v10, v11
	v_sub_co_u32 v12, vcc_lo, v10, v11
                                        ; implicit-def: $vgpr10_vgpr11
.LBB1_37:                               ;   in Loop: Header=BB1_27 Depth=2
	s_and_not1_saveexec_b32 s3, s42
	s_cbranch_execz .LBB1_39
; %bb.38:                               ;   in Loop: Header=BB1_27 Depth=2
	v_rcp_iflag_f32_e32 v11, v14
	s_sub_i32 s4, 0, s34
	s_waitcnt_depctr 0xfff
	v_mul_f32_e32 v11, 0x4f7ffffe, v11
	s_delay_alu instid0(VALU_DEP_1) | instskip(NEXT) | instid1(VALU_DEP_1)
	v_cvt_u32_f32_e32 v11, v11
	v_mul_lo_u32 v12, s4, v11
	s_delay_alu instid0(VALU_DEP_1) | instskip(NEXT) | instid1(VALU_DEP_1)
	v_mul_hi_u32 v12, v11, v12
	v_add_nc_u32_e32 v11, v11, v12
	s_delay_alu instid0(VALU_DEP_1) | instskip(NEXT) | instid1(VALU_DEP_1)
	v_mul_hi_u32 v11, v10, v11
	v_mul_lo_u32 v12, v11, s34
	s_delay_alu instid0(VALU_DEP_1) | instskip(SKIP_1) | instid1(VALU_DEP_2)
	v_sub_nc_u32_e32 v10, v10, v12
	v_add_nc_u32_e32 v12, 1, v11
	v_subrev_nc_u32_e32 v13, s34, v10
	v_cmp_le_u32_e32 vcc_lo, s34, v10
	s_delay_alu instid0(VALU_DEP_2) | instskip(NEXT) | instid1(VALU_DEP_1)
	v_dual_cndmask_b32 v10, v10, v13 :: v_dual_cndmask_b32 v11, v11, v12
	v_cmp_le_u32_e32 vcc_lo, s34, v10
	s_delay_alu instid0(VALU_DEP_2) | instskip(NEXT) | instid1(VALU_DEP_1)
	v_add_nc_u32_e32 v12, 1, v11
	v_cndmask_b32_e32 v12, v11, v12, vcc_lo
.LBB1_39:                               ;   in Loop: Header=BB1_27 Depth=2
	s_or_b32 exec_lo, exec_lo, s3
	v_mad_u64_u32 v[13:14], null, v7, s18, v[8:9]
	v_mov_b32_e32 v25, 0xff800000
	s_and_not1_b32 vcc_lo, exec_lo, s1
	s_delay_alu instid0(VALU_DEP_2) | instskip(NEXT) | instid1(VALU_DEP_1)
	v_add_nc_u32_e32 v9, v24, v13
	v_ashrrev_i32_e32 v10, 31, v9
	s_cbranch_vccnz .LBB1_26
; %bb.40:                               ;   in Loop: Header=BB1_27 Depth=2
	v_ashrrev_i32_e32 v14, 31, v13
	v_sub_nc_u32_e32 v15, v12, v13
	v_mad_u64_u32 v[11:12], null, s10, v13, v[4:5]
	v_mul_lo_u32 v25, s11, v13
	s_delay_alu instid0(VALU_DEP_4) | instskip(SKIP_3) | instid1(VALU_DEP_2)
	v_mul_lo_u32 v27, s10, v14
	v_add_nc_u32_e32 v7, v6, v7
	v_add_nc_u32_e32 v26, 1, v15
	s_mov_b32 s14, 0
	v_mad_u64_u32 v[13:14], null, s18, v7, v[8:9]
	s_delay_alu instid0(VALU_DEP_4)
	v_add3_u32 v12, v25, v12, v27
	v_mov_b32_e32 v25, 0xff800000
	v_cmp_lt_i32_e64 s3, 0, v26
	s_branch .LBB1_43
.LBB1_41:                               ;   in Loop: Header=BB1_43 Depth=3
	s_set_inst_prefetch_distance 0x2
	s_or_b32 exec_lo, exec_lo, s42
.LBB1_42:                               ;   in Loop: Header=BB1_43 Depth=3
	s_delay_alu instid0(SALU_CYCLE_1)
	s_or_b32 exec_lo, exec_lo, s15
	s_add_i32 s14, s14, 1
	v_add_co_u32 v11, s4, v11, s6
	v_cmp_ne_u32_e32 vcc_lo, s14, v16
	v_add_co_ci_u32_e64 v12, s4, s7, v12, s4
	v_add_nc_u32_e32 v13, s38, v13
	s_cbranch_vccz .LBB1_26
.LBB1_43:                               ;   Parent Loop BB1_12 Depth=1
                                        ;     Parent Loop BB1_27 Depth=2
                                        ; =>    This Loop Header: Depth=3
                                        ;         Child Loop BB1_46 Depth 4
                                        ;           Child Loop BB1_48 Depth 5
	s_and_saveexec_b32 s15, s2
	s_cbranch_execz .LBB1_42
; %bb.44:                               ;   in Loop: Header=BB1_43 Depth=3
	v_mov_b32_e32 v7, v11
	v_dual_mov_b32 v27, v13 :: v_dual_mov_b32 v8, v12
	s_mov_b32 s42, 0
	s_mov_b32 s43, 0
	s_set_inst_prefetch_distance 0x1
	s_branch .LBB1_46
	.p2align	6
.LBB1_45:                               ;   in Loop: Header=BB1_46 Depth=4
	s_or_b32 exec_lo, exec_lo, s44
	s_add_i32 s43, s43, 1
	v_add_co_u32 v7, s4, v7, s8
	v_cmp_ge_i32_e32 vcc_lo, s43, v19
	v_add_co_ci_u32_e64 v8, s4, s9, v8, s4
	v_add_nc_u32_e32 v27, s18, v27
	s_or_b32 s42, vcc_lo, s42
	s_delay_alu instid0(SALU_CYCLE_1)
	s_and_not1_b32 exec_lo, exec_lo, s42
	s_cbranch_execz .LBB1_41
.LBB1_46:                               ;   Parent Loop BB1_12 Depth=1
                                        ;     Parent Loop BB1_27 Depth=2
                                        ;       Parent Loop BB1_43 Depth=3
                                        ; =>      This Loop Header: Depth=4
                                        ;           Child Loop BB1_48 Depth 5
	s_and_saveexec_b32 s44, s3
	s_cbranch_execz .LBB1_45
; %bb.47:                               ;   in Loop: Header=BB1_46 Depth=4
	v_dual_mov_b32 v15, v8 :: v_dual_mov_b32 v14, v7
	s_mov_b32 s45, 0
	s_mov_b32 s46, 0
	.p2align	6
.LBB1_48:                               ;   Parent Loop BB1_12 Depth=1
                                        ;     Parent Loop BB1_27 Depth=2
                                        ;       Parent Loop BB1_43 Depth=3
                                        ;         Parent Loop BB1_46 Depth=4
                                        ; =>        This Inner Loop Header: Depth=5
	global_load_b32 v28, v[14:15], off
	v_add_co_u32 v14, vcc_lo, v14, s10
	v_add_co_ci_u32_e32 v15, vcc_lo, s11, v15, vcc_lo
	s_waitcnt vmcnt(0)
	v_cmp_gt_f32_e32 vcc_lo, v28, v25
	v_cmp_u_f32_e64 s4, v28, v28
	s_delay_alu instid0(VALU_DEP_1) | instskip(SKIP_4) | instid1(VALU_DEP_3)
	s_or_b32 vcc_lo, vcc_lo, s4
	v_add_nc_u32_e32 v29, s46, v27
	s_add_i32 s46, s46, 1
	v_cndmask_b32_e32 v25, v25, v28, vcc_lo
	v_cmp_ge_i32_e64 s5, s46, v26
	v_ashrrev_i32_e32 v30, 31, v29
	s_delay_alu instid0(VALU_DEP_2) | instskip(NEXT) | instid1(VALU_DEP_1)
	s_or_b32 s45, s5, s45
	v_dual_cndmask_b32 v10, v10, v30 :: v_dual_cndmask_b32 v9, v9, v29
	s_and_not1_b32 exec_lo, exec_lo, s45
	s_cbranch_execnz .LBB1_48
; %bb.49:                               ;   in Loop: Header=BB1_46 Depth=4
	s_or_b32 exec_lo, exec_lo, s45
	s_branch .LBB1_45
.LBB1_50:
	s_nop 0
	s_sendmsg sendmsg(MSG_DEALLOC_VGPRS)
	s_endpgm
.LBB1_51:
                                        ; implicit-def: $sgpr26_sgpr27
	s_branch .LBB1_2
.LBB1_52:
                                        ; implicit-def: $sgpr22_sgpr23
	s_load_b32 s33, s[0:1], 0x64
	s_branch .LBB1_5
.LBB1_53:
                                        ; implicit-def: $vgpr2_vgpr3
	s_load_b32 s2, s[0:1], 0x5c
	s_branch .LBB1_9
	.section	.rodata,"a",@progbits
	.p2align	6, 0x0
	.amdhsa_kernel _ZN2at6native12_GLOBAL__N_115adaptivemaxpoolIfEEvPKT_PS3_Pliiiiiilllll
		.amdhsa_group_segment_fixed_size 0
		.amdhsa_private_segment_fixed_size 0
		.amdhsa_kernarg_size 344
		.amdhsa_user_sgpr_count 14
		.amdhsa_user_sgpr_dispatch_ptr 0
		.amdhsa_user_sgpr_queue_ptr 0
		.amdhsa_user_sgpr_kernarg_segment_ptr 1
		.amdhsa_user_sgpr_dispatch_id 0
		.amdhsa_user_sgpr_private_segment_size 0
		.amdhsa_wavefront_size32 1
		.amdhsa_uses_dynamic_stack 0
		.amdhsa_enable_private_segment 0
		.amdhsa_system_sgpr_workgroup_id_x 1
		.amdhsa_system_sgpr_workgroup_id_y 1
		.amdhsa_system_sgpr_workgroup_id_z 0
		.amdhsa_system_sgpr_workgroup_info 0
		.amdhsa_system_vgpr_workitem_id 1
		.amdhsa_next_free_vgpr 31
		.amdhsa_next_free_sgpr 47
		.amdhsa_reserve_vcc 1
		.amdhsa_float_round_mode_32 0
		.amdhsa_float_round_mode_16_64 0
		.amdhsa_float_denorm_mode_32 3
		.amdhsa_float_denorm_mode_16_64 3
		.amdhsa_dx10_clamp 1
		.amdhsa_ieee_mode 1
		.amdhsa_fp16_overflow 0
		.amdhsa_workgroup_processor_mode 1
		.amdhsa_memory_ordered 1
		.amdhsa_forward_progress 0
		.amdhsa_shared_vgpr_count 0
		.amdhsa_exception_fp_ieee_invalid_op 0
		.amdhsa_exception_fp_denorm_src 0
		.amdhsa_exception_fp_ieee_div_zero 0
		.amdhsa_exception_fp_ieee_overflow 0
		.amdhsa_exception_fp_ieee_underflow 0
		.amdhsa_exception_fp_ieee_inexact 0
		.amdhsa_exception_int_div_zero 0
	.end_amdhsa_kernel
	.section	.text._ZN2at6native12_GLOBAL__N_115adaptivemaxpoolIfEEvPKT_PS3_Pliiiiiilllll,"axG",@progbits,_ZN2at6native12_GLOBAL__N_115adaptivemaxpoolIfEEvPKT_PS3_Pliiiiiilllll,comdat
.Lfunc_end1:
	.size	_ZN2at6native12_GLOBAL__N_115adaptivemaxpoolIfEEvPKT_PS3_Pliiiiiilllll, .Lfunc_end1-_ZN2at6native12_GLOBAL__N_115adaptivemaxpoolIfEEvPKT_PS3_Pliiiiiilllll
                                        ; -- End function
	.section	.AMDGPU.csdata,"",@progbits
; Kernel info:
; codeLenInByte = 8896
; NumSgprs: 49
; NumVgprs: 31
; ScratchSize: 0
; MemoryBound: 0
; FloatMode: 240
; IeeeMode: 1
; LDSByteSize: 0 bytes/workgroup (compile time only)
; SGPRBlocks: 6
; VGPRBlocks: 3
; NumSGPRsForWavesPerEU: 49
; NumVGPRsForWavesPerEU: 31
; Occupancy: 16
; WaveLimiterHint : 0
; COMPUTE_PGM_RSRC2:SCRATCH_EN: 0
; COMPUTE_PGM_RSRC2:USER_SGPR: 14
; COMPUTE_PGM_RSRC2:TRAP_HANDLER: 0
; COMPUTE_PGM_RSRC2:TGID_X_EN: 1
; COMPUTE_PGM_RSRC2:TGID_Y_EN: 1
; COMPUTE_PGM_RSRC2:TGID_Z_EN: 0
; COMPUTE_PGM_RSRC2:TIDIG_COMP_CNT: 1
	.section	.text._ZN2at6native12_GLOBAL__N_115adaptivemaxpoolIN3c104HalfEEEvPKT_PS5_Pliiiiiilllll,"axG",@progbits,_ZN2at6native12_GLOBAL__N_115adaptivemaxpoolIN3c104HalfEEEvPKT_PS5_Pliiiiiilllll,comdat
	.globl	_ZN2at6native12_GLOBAL__N_115adaptivemaxpoolIN3c104HalfEEEvPKT_PS5_Pliiiiiilllll ; -- Begin function _ZN2at6native12_GLOBAL__N_115adaptivemaxpoolIN3c104HalfEEEvPKT_PS5_Pliiiiiilllll
	.p2align	8
	.type	_ZN2at6native12_GLOBAL__N_115adaptivemaxpoolIN3c104HalfEEEvPKT_PS5_Pliiiiiilllll,@function
_ZN2at6native12_GLOBAL__N_115adaptivemaxpoolIN3c104HalfEEEvPKT_PS5_Pliiiiiilllll: ; @_ZN2at6native12_GLOBAL__N_115adaptivemaxpoolIN3c104HalfEEEvPKT_PS5_Pliiiiiilllll
; %bb.0:
	s_clause 0x2
	s_load_b64 s[2:3], s[0:1], 0x50
	s_load_b128 s[16:19], s[0:1], 0x18
	s_load_b64 s[20:21], s[0:1], 0x28
	s_waitcnt lgkmcnt(0)
	s_add_u32 s24, s14, s2
	s_addc_u32 s25, 0, s3
	s_ashr_i32 s13, s19, 31
	s_mov_b32 s12, s19
	s_delay_alu instid0(SALU_CYCLE_1) | instskip(SKIP_1) | instid1(SALU_CYCLE_1)
	s_or_b64 s[2:3], s[24:25], s[12:13]
	s_mov_b32 s2, 0
	s_cmp_lg_u64 s[2:3], 0
	s_cbranch_scc0 .LBB2_51
; %bb.1:
	s_add_u32 s6, s12, s13
	s_mov_b32 s4, s13
	s_mov_b32 s5, s13
	s_addc_u32 s7, s13, s13
	s_delay_alu instid0(SALU_CYCLE_1) | instskip(NEXT) | instid1(SALU_CYCLE_1)
	s_xor_b64 s[6:7], s[6:7], s[4:5]
	v_cvt_f32_u32_e32 v1, s6
	v_cvt_f32_u32_e32 v2, s7
	s_sub_u32 s9, 0, s6
	s_subb_u32 s10, 0, s7
	s_delay_alu instid0(VALU_DEP_1) | instskip(NEXT) | instid1(VALU_DEP_1)
	v_fmamk_f32 v1, v2, 0x4f800000, v1
	v_rcp_f32_e32 v1, v1
	s_waitcnt_depctr 0xfff
	v_mul_f32_e32 v1, 0x5f7ffffc, v1
	s_delay_alu instid0(VALU_DEP_1) | instskip(NEXT) | instid1(VALU_DEP_1)
	v_mul_f32_e32 v2, 0x2f800000, v1
	v_trunc_f32_e32 v2, v2
	s_delay_alu instid0(VALU_DEP_1) | instskip(SKIP_1) | instid1(VALU_DEP_2)
	v_fmamk_f32 v1, v2, 0xcf800000, v1
	v_cvt_u32_f32_e32 v2, v2
	v_cvt_u32_f32_e32 v1, v1
	s_delay_alu instid0(VALU_DEP_2) | instskip(NEXT) | instid1(VALU_DEP_2)
	v_readfirstlane_b32 s3, v2
	v_readfirstlane_b32 s8, v1
	s_delay_alu instid0(VALU_DEP_2) | instskip(NEXT) | instid1(VALU_DEP_1)
	s_mul_i32 s11, s9, s3
	s_mul_hi_u32 s19, s9, s8
	s_mul_i32 s14, s10, s8
	s_add_i32 s11, s19, s11
	s_mul_i32 s22, s9, s8
	s_add_i32 s11, s11, s14
	s_mul_hi_u32 s19, s8, s22
	s_mul_hi_u32 s23, s3, s22
	s_mul_i32 s14, s3, s22
	s_mul_hi_u32 s22, s8, s11
	s_mul_i32 s8, s8, s11
	s_mul_hi_u32 s26, s3, s11
	s_add_u32 s8, s19, s8
	s_addc_u32 s19, 0, s22
	s_add_u32 s8, s8, s14
	s_mul_i32 s11, s3, s11
	s_addc_u32 s8, s19, s23
	s_addc_u32 s14, s26, 0
	s_add_u32 s8, s8, s11
	s_addc_u32 s11, 0, s14
	v_add_co_u32 v1, s8, v1, s8
	s_delay_alu instid0(VALU_DEP_1) | instskip(SKIP_1) | instid1(VALU_DEP_1)
	s_cmp_lg_u32 s8, 0
	s_addc_u32 s3, s3, s11
	v_readfirstlane_b32 s8, v1
	s_mul_i32 s11, s9, s3
	s_delay_alu instid0(VALU_DEP_1)
	s_mul_hi_u32 s14, s9, s8
	s_mul_i32 s10, s10, s8
	s_add_i32 s11, s14, s11
	s_mul_i32 s9, s9, s8
	s_add_i32 s11, s11, s10
	s_mul_hi_u32 s14, s3, s9
	s_mul_i32 s19, s3, s9
	s_mul_hi_u32 s9, s8, s9
	s_mul_hi_u32 s22, s8, s11
	s_mul_i32 s8, s8, s11
	s_mul_hi_u32 s10, s3, s11
	s_add_u32 s8, s9, s8
	s_addc_u32 s9, 0, s22
	s_add_u32 s8, s8, s19
	s_mul_i32 s11, s3, s11
	s_addc_u32 s8, s9, s14
	s_addc_u32 s9, s10, 0
	s_add_u32 s8, s8, s11
	s_addc_u32 s9, 0, s9
	v_add_co_u32 v1, s8, v1, s8
	s_delay_alu instid0(VALU_DEP_1) | instskip(SKIP_2) | instid1(VALU_DEP_1)
	s_cmp_lg_u32 s8, 0
	s_addc_u32 s3, s3, s9
	s_ashr_i32 s8, s25, 31
	v_readfirstlane_b32 s14, v1
	s_add_u32 s10, s24, s8
	s_mov_b32 s9, s8
	s_addc_u32 s11, s25, s8
	s_delay_alu instid0(SALU_CYCLE_1) | instskip(NEXT) | instid1(SALU_CYCLE_1)
	s_xor_b64 s[10:11], s[10:11], s[8:9]
	s_mul_i32 s22, s10, s3
	s_mul_hi_u32 s23, s10, s14
	s_mul_hi_u32 s19, s10, s3
	;; [unrolled: 1-line block ×3, first 2 shown]
	s_mul_i32 s14, s11, s14
	s_add_u32 s22, s23, s22
	s_addc_u32 s19, 0, s19
	s_mul_hi_u32 s26, s11, s3
	s_add_u32 s14, s22, s14
	s_mul_i32 s3, s11, s3
	s_addc_u32 s14, s19, s27
	s_addc_u32 s19, s26, 0
	s_add_u32 s3, s14, s3
	s_addc_u32 s14, 0, s19
	s_mul_i32 s26, s6, s3
	s_mul_hi_u32 s19, s6, s3
	s_mul_i32 s23, s6, s14
	v_sub_co_u32 v1, s10, s10, s26
	s_mul_i32 s22, s7, s3
	s_add_i32 s19, s19, s23
	s_delay_alu instid0(SALU_CYCLE_1) | instskip(NEXT) | instid1(VALU_DEP_1)
	s_add_i32 s19, s19, s22
	v_sub_co_u32 v2, s23, v1, s6
	s_sub_i32 s22, s11, s19
	s_cmp_lg_u32 s10, 0
	s_subb_u32 s22, s22, s7
	s_cmp_lg_u32 s23, 0
	v_readfirstlane_b32 s23, v2
	s_subb_u32 s22, s22, 0
	s_delay_alu instid0(SALU_CYCLE_1) | instskip(SKIP_1) | instid1(VALU_DEP_1)
	s_cmp_ge_u32 s22, s7
	s_cselect_b32 s26, -1, 0
	s_cmp_ge_u32 s23, s6
	s_cselect_b32 s23, -1, 0
	s_cmp_eq_u32 s22, s7
	s_cselect_b32 s22, s23, s26
	s_add_u32 s23, s3, 1
	s_addc_u32 s26, s14, 0
	s_add_u32 s27, s3, 2
	s_addc_u32 s28, s14, 0
	s_cmp_lg_u32 s22, 0
	s_cselect_b32 s22, s27, s23
	s_cselect_b32 s23, s28, s26
	s_cmp_lg_u32 s10, 0
	v_readfirstlane_b32 s10, v1
	s_subb_u32 s11, s11, s19
	s_delay_alu instid0(SALU_CYCLE_1) | instskip(SKIP_1) | instid1(VALU_DEP_1)
	s_cmp_ge_u32 s11, s7
	s_cselect_b32 s19, -1, 0
	s_cmp_ge_u32 s10, s6
	s_cselect_b32 s6, -1, 0
	s_cmp_eq_u32 s11, s7
	s_cselect_b32 s6, s6, s19
	s_delay_alu instid0(SALU_CYCLE_1) | instskip(SKIP_3) | instid1(SALU_CYCLE_1)
	s_cmp_lg_u32 s6, 0
	s_cselect_b32 s7, s23, s14
	s_cselect_b32 s6, s22, s3
	s_xor_b64 s[4:5], s[8:9], s[4:5]
	s_xor_b64 s[6:7], s[6:7], s[4:5]
	s_delay_alu instid0(SALU_CYCLE_1)
	s_sub_u32 s26, s6, s4
	s_subb_u32 s27, s7, s5
	s_and_not1_b32 vcc_lo, exec_lo, s2
	s_cbranch_vccnz .LBB2_3
.LBB2_2:
	v_cvt_f32_u32_e32 v1, s12
	s_sub_i32 s3, 0, s12
	s_mov_b32 s27, 0
	s_delay_alu instid0(VALU_DEP_1) | instskip(SKIP_2) | instid1(VALU_DEP_1)
	v_rcp_iflag_f32_e32 v1, v1
	s_waitcnt_depctr 0xfff
	v_mul_f32_e32 v1, 0x4f7ffffe, v1
	v_cvt_u32_f32_e32 v1, v1
	s_delay_alu instid0(VALU_DEP_1) | instskip(NEXT) | instid1(VALU_DEP_1)
	v_readfirstlane_b32 s2, v1
	s_mul_i32 s3, s3, s2
	s_delay_alu instid0(SALU_CYCLE_1) | instskip(NEXT) | instid1(SALU_CYCLE_1)
	s_mul_hi_u32 s3, s2, s3
	s_add_i32 s2, s2, s3
	s_delay_alu instid0(SALU_CYCLE_1) | instskip(NEXT) | instid1(SALU_CYCLE_1)
	s_mul_hi_u32 s2, s24, s2
	s_mul_i32 s3, s2, s12
	s_add_i32 s4, s2, 1
	s_sub_i32 s3, s24, s3
	s_delay_alu instid0(SALU_CYCLE_1)
	s_sub_i32 s5, s3, s12
	s_cmp_ge_u32 s3, s12
	s_cselect_b32 s2, s4, s2
	s_cselect_b32 s3, s5, s3
	s_add_i32 s4, s2, 1
	s_cmp_ge_u32 s3, s12
	s_cselect_b32 s26, s4, s2
.LBB2_3:
	s_delay_alu instid0(SALU_CYCLE_1) | instskip(SKIP_4) | instid1(SALU_CYCLE_1)
	s_mul_i32 s2, s26, s13
	s_mul_hi_u32 s3, s26, s12
	s_mul_i32 s4, s26, s12
	s_add_i32 s2, s3, s2
	s_mul_i32 s3, s27, s12
	s_add_i32 s2, s2, s3
	s_sub_u32 s4, s24, s4
	s_subb_u32 s2, s25, s2
	s_ashr_i32 s14, s16, 31
	s_mul_hi_u32 s5, s4, s16
	s_mul_i32 s3, s4, s14
	s_mul_i32 s2, s2, s16
	s_add_i32 s3, s5, s3
	s_delay_alu instid0(SALU_CYCLE_1) | instskip(SKIP_1) | instid1(SALU_CYCLE_1)
	s_add_i32 s3, s3, s2
	s_mul_i32 s2, s4, s16
	s_or_b64 s[4:5], s[2:3], s[12:13]
	s_mov_b32 s4, 0
	s_delay_alu instid0(SALU_CYCLE_1)
	s_cmp_lg_u64 s[4:5], 0
	s_cbranch_scc0 .LBB2_52
; %bb.4:
	s_add_u32 s8, s12, s13
	s_mov_b32 s6, s13
	s_mov_b32 s7, s13
	s_addc_u32 s9, s13, s13
	s_delay_alu instid0(SALU_CYCLE_1) | instskip(NEXT) | instid1(SALU_CYCLE_1)
	s_xor_b64 s[8:9], s[8:9], s[6:7]
	v_cvt_f32_u32_e32 v1, s8
	v_cvt_f32_u32_e32 v2, s9
	s_sub_u32 s11, 0, s8
	s_subb_u32 s19, 0, s9
	s_delay_alu instid0(VALU_DEP_1) | instskip(NEXT) | instid1(VALU_DEP_1)
	v_fmamk_f32 v1, v2, 0x4f800000, v1
	v_rcp_f32_e32 v1, v1
	s_waitcnt_depctr 0xfff
	v_mul_f32_e32 v1, 0x5f7ffffc, v1
	s_delay_alu instid0(VALU_DEP_1) | instskip(NEXT) | instid1(VALU_DEP_1)
	v_mul_f32_e32 v2, 0x2f800000, v1
	v_trunc_f32_e32 v2, v2
	s_delay_alu instid0(VALU_DEP_1) | instskip(SKIP_1) | instid1(VALU_DEP_2)
	v_fmamk_f32 v1, v2, 0xcf800000, v1
	v_cvt_u32_f32_e32 v2, v2
	v_cvt_u32_f32_e32 v1, v1
	s_delay_alu instid0(VALU_DEP_2) | instskip(NEXT) | instid1(VALU_DEP_2)
	v_readfirstlane_b32 s5, v2
	v_readfirstlane_b32 s10, v1
	s_delay_alu instid0(VALU_DEP_2) | instskip(NEXT) | instid1(VALU_DEP_1)
	s_mul_i32 s22, s11, s5
	s_mul_hi_u32 s28, s11, s10
	s_mul_i32 s23, s19, s10
	s_add_i32 s22, s28, s22
	s_mul_i32 s29, s11, s10
	s_add_i32 s22, s22, s23
	s_mul_hi_u32 s28, s10, s29
	s_mul_hi_u32 s30, s5, s29
	s_mul_i32 s23, s5, s29
	s_mul_hi_u32 s29, s10, s22
	s_mul_i32 s10, s10, s22
	s_mul_hi_u32 s31, s5, s22
	s_add_u32 s10, s28, s10
	s_addc_u32 s28, 0, s29
	s_add_u32 s10, s10, s23
	s_mul_i32 s22, s5, s22
	s_addc_u32 s10, s28, s30
	s_addc_u32 s23, s31, 0
	s_add_u32 s10, s10, s22
	s_addc_u32 s22, 0, s23
	v_add_co_u32 v1, s10, v1, s10
	s_delay_alu instid0(VALU_DEP_1) | instskip(SKIP_1) | instid1(VALU_DEP_1)
	s_cmp_lg_u32 s10, 0
	s_addc_u32 s5, s5, s22
	v_readfirstlane_b32 s10, v1
	s_mul_i32 s22, s11, s5
	s_delay_alu instid0(VALU_DEP_1)
	s_mul_hi_u32 s23, s11, s10
	s_mul_i32 s19, s19, s10
	s_add_i32 s22, s23, s22
	s_mul_i32 s11, s11, s10
	s_add_i32 s22, s22, s19
	s_mul_hi_u32 s23, s5, s11
	s_mul_i32 s28, s5, s11
	s_mul_hi_u32 s11, s10, s11
	s_mul_hi_u32 s29, s10, s22
	s_mul_i32 s10, s10, s22
	s_mul_hi_u32 s19, s5, s22
	s_add_u32 s10, s11, s10
	s_addc_u32 s11, 0, s29
	s_add_u32 s10, s10, s28
	s_mul_i32 s22, s5, s22
	s_addc_u32 s10, s11, s23
	s_addc_u32 s11, s19, 0
	s_add_u32 s10, s10, s22
	s_addc_u32 s11, 0, s11
	v_add_co_u32 v1, s10, v1, s10
	s_delay_alu instid0(VALU_DEP_1) | instskip(SKIP_2) | instid1(VALU_DEP_1)
	s_cmp_lg_u32 s10, 0
	s_addc_u32 s5, s5, s11
	s_ashr_i32 s10, s3, 31
	v_readfirstlane_b32 s19, v1
	s_add_u32 s22, s2, s10
	s_mov_b32 s11, s10
	s_addc_u32 s23, s3, s10
	s_delay_alu instid0(SALU_CYCLE_1) | instskip(NEXT) | instid1(SALU_CYCLE_1)
	s_xor_b64 s[22:23], s[22:23], s[10:11]
	s_mul_i32 s29, s22, s5
	s_mul_hi_u32 s30, s22, s19
	s_mul_hi_u32 s28, s22, s5
	;; [unrolled: 1-line block ×3, first 2 shown]
	s_mul_i32 s19, s23, s19
	s_add_u32 s29, s30, s29
	s_addc_u32 s28, 0, s28
	s_mul_hi_u32 s31, s23, s5
	s_add_u32 s19, s29, s19
	s_mul_i32 s5, s23, s5
	s_addc_u32 s19, s28, s33
	s_addc_u32 s28, s31, 0
	s_add_u32 s5, s19, s5
	s_addc_u32 s19, 0, s28
	s_mul_i32 s31, s8, s5
	s_mul_hi_u32 s28, s8, s5
	s_mul_i32 s30, s8, s19
	v_sub_co_u32 v1, s22, s22, s31
	s_mul_i32 s29, s9, s5
	s_add_i32 s28, s28, s30
	s_delay_alu instid0(SALU_CYCLE_1) | instskip(NEXT) | instid1(VALU_DEP_1)
	s_add_i32 s28, s28, s29
	v_sub_co_u32 v2, s30, v1, s8
	s_sub_i32 s29, s23, s28
	s_cmp_lg_u32 s22, 0
	s_subb_u32 s29, s29, s9
	s_cmp_lg_u32 s30, 0
	v_readfirstlane_b32 s30, v2
	s_subb_u32 s29, s29, 0
	s_delay_alu instid0(SALU_CYCLE_1) | instskip(SKIP_1) | instid1(VALU_DEP_1)
	s_cmp_ge_u32 s29, s9
	s_cselect_b32 s31, -1, 0
	s_cmp_ge_u32 s30, s8
	s_cselect_b32 s30, -1, 0
	s_cmp_eq_u32 s29, s9
	s_cselect_b32 s29, s30, s31
	s_add_u32 s30, s5, 1
	s_addc_u32 s31, s19, 0
	s_add_u32 s33, s5, 2
	s_addc_u32 s34, s19, 0
	s_cmp_lg_u32 s29, 0
	s_cselect_b32 s29, s33, s30
	s_cselect_b32 s30, s34, s31
	s_cmp_lg_u32 s22, 0
	v_readfirstlane_b32 s22, v1
	s_subb_u32 s23, s23, s28
	s_delay_alu instid0(SALU_CYCLE_1) | instskip(SKIP_1) | instid1(VALU_DEP_1)
	s_cmp_ge_u32 s23, s9
	s_cselect_b32 s28, -1, 0
	s_cmp_ge_u32 s22, s8
	s_cselect_b32 s8, -1, 0
	s_cmp_eq_u32 s23, s9
	s_cselect_b32 s8, s8, s28
	s_delay_alu instid0(SALU_CYCLE_1) | instskip(SKIP_3) | instid1(SALU_CYCLE_1)
	s_cmp_lg_u32 s8, 0
	s_cselect_b32 s9, s30, s19
	s_cselect_b32 s8, s29, s5
	s_xor_b64 s[6:7], s[10:11], s[6:7]
	s_xor_b64 s[8:9], s[8:9], s[6:7]
	s_delay_alu instid0(SALU_CYCLE_1)
	s_sub_u32 s22, s8, s6
	s_subb_u32 s23, s9, s7
	s_load_b32 s33, s[0:1], 0x64
	s_and_not1_b32 vcc_lo, exec_lo, s4
	s_cbranch_vccnz .LBB2_6
.LBB2_5:
	v_cvt_f32_u32_e32 v1, s12
	s_sub_i32 s5, 0, s12
	s_mov_b32 s23, 0
	s_delay_alu instid0(VALU_DEP_1) | instskip(SKIP_2) | instid1(VALU_DEP_1)
	v_rcp_iflag_f32_e32 v1, v1
	s_waitcnt_depctr 0xfff
	v_mul_f32_e32 v1, 0x4f7ffffe, v1
	v_cvt_u32_f32_e32 v1, v1
	s_delay_alu instid0(VALU_DEP_1) | instskip(NEXT) | instid1(VALU_DEP_1)
	v_readfirstlane_b32 s4, v1
	s_mul_i32 s5, s5, s4
	s_delay_alu instid0(SALU_CYCLE_1) | instskip(NEXT) | instid1(SALU_CYCLE_1)
	s_mul_hi_u32 s5, s4, s5
	s_add_i32 s4, s4, s5
	s_delay_alu instid0(SALU_CYCLE_1) | instskip(NEXT) | instid1(SALU_CYCLE_1)
	s_mul_hi_u32 s4, s2, s4
	s_mul_i32 s5, s4, s12
	s_add_i32 s6, s4, 1
	s_sub_i32 s5, s2, s5
	s_delay_alu instid0(SALU_CYCLE_1)
	s_sub_i32 s7, s5, s12
	s_cmp_ge_u32 s5, s12
	s_cselect_b32 s4, s6, s4
	s_cselect_b32 s5, s7, s5
	s_add_i32 s6, s4, 1
	s_cmp_ge_u32 s5, s12
	s_cselect_b32 s22, s6, s4
.LBB2_6:
	v_bfe_u32 v3, v0, 10, 10
	s_waitcnt lgkmcnt(0)
	s_lshr_b32 s35, s33, 16
	s_mov_b32 s4, exec_lo
	s_delay_alu instid0(VALU_DEP_1) | instskip(NEXT) | instid1(VALU_DEP_1)
	v_mad_u64_u32 v[1:2], null, s15, s35, v[3:4]
	v_cmpx_gt_i32_e64 s20, v1
	s_cbranch_execz .LBB2_50
; %bb.7:
	s_load_b256 s[4:11], s[0:1], 0x30
	s_add_u32 s2, s2, s16
	s_addc_u32 s3, s3, s14
	s_add_u32 s14, s2, -1
	s_addc_u32 s15, s3, -1
	s_delay_alu instid0(SALU_CYCLE_1) | instskip(SKIP_1) | instid1(SALU_CYCLE_1)
	s_or_b64 s[28:29], s[14:15], s[12:13]
	s_mov_b32 s28, 0
	s_cmp_lg_u64 s[28:29], 0
	s_cbranch_scc0 .LBB2_53
; %bb.8:
	s_add_u32 s2, s12, s13
	s_mov_b32 s30, s13
	s_mov_b32 s31, s13
	s_addc_u32 s3, s13, s13
	s_delay_alu instid0(SALU_CYCLE_1) | instskip(NEXT) | instid1(SALU_CYCLE_1)
	s_xor_b64 s[2:3], s[2:3], s[30:31]
	v_cvt_f32_u32_e32 v2, s2
	v_cvt_f32_u32_e32 v3, s3
	s_sub_u32 s19, 0, s2
	s_subb_u32 s29, 0, s3
	s_delay_alu instid0(VALU_DEP_1) | instskip(NEXT) | instid1(VALU_DEP_1)
	v_fmamk_f32 v2, v3, 0x4f800000, v2
	v_rcp_f32_e32 v2, v2
	s_waitcnt_depctr 0xfff
	v_mul_f32_e32 v2, 0x5f7ffffc, v2
	s_delay_alu instid0(VALU_DEP_1) | instskip(NEXT) | instid1(VALU_DEP_1)
	v_mul_f32_e32 v3, 0x2f800000, v2
	v_trunc_f32_e32 v3, v3
	s_delay_alu instid0(VALU_DEP_1) | instskip(SKIP_1) | instid1(VALU_DEP_2)
	v_fmamk_f32 v2, v3, 0xcf800000, v2
	v_cvt_u32_f32_e32 v3, v3
	v_cvt_u32_f32_e32 v2, v2
	s_delay_alu instid0(VALU_DEP_2) | instskip(NEXT) | instid1(VALU_DEP_2)
	v_readfirstlane_b32 s13, v3
	v_readfirstlane_b32 s16, v2
	s_delay_alu instid0(VALU_DEP_2) | instskip(NEXT) | instid1(VALU_DEP_1)
	s_mul_i32 s34, s19, s13
	s_mul_hi_u32 s37, s19, s16
	s_mul_i32 s36, s29, s16
	s_add_i32 s34, s37, s34
	s_mul_i32 s38, s19, s16
	s_add_i32 s34, s34, s36
	s_mul_hi_u32 s37, s16, s38
	s_mul_hi_u32 s39, s13, s38
	s_mul_i32 s36, s13, s38
	s_mul_hi_u32 s38, s16, s34
	s_mul_i32 s16, s16, s34
	s_mul_hi_u32 s40, s13, s34
	s_add_u32 s16, s37, s16
	s_addc_u32 s37, 0, s38
	s_add_u32 s16, s16, s36
	s_mul_i32 s34, s13, s34
	s_addc_u32 s16, s37, s39
	s_addc_u32 s36, s40, 0
	s_add_u32 s16, s16, s34
	s_addc_u32 s34, 0, s36
	v_add_co_u32 v2, s16, v2, s16
	s_delay_alu instid0(VALU_DEP_1) | instskip(SKIP_1) | instid1(VALU_DEP_1)
	s_cmp_lg_u32 s16, 0
	s_addc_u32 s13, s13, s34
	v_readfirstlane_b32 s16, v2
	s_mul_i32 s34, s19, s13
	s_delay_alu instid0(VALU_DEP_1)
	s_mul_hi_u32 s36, s19, s16
	s_mul_i32 s29, s29, s16
	s_add_i32 s34, s36, s34
	s_mul_i32 s19, s19, s16
	s_add_i32 s34, s34, s29
	s_mul_hi_u32 s36, s13, s19
	s_mul_i32 s37, s13, s19
	s_mul_hi_u32 s19, s16, s19
	s_mul_hi_u32 s38, s16, s34
	s_mul_i32 s16, s16, s34
	s_mul_hi_u32 s29, s13, s34
	s_add_u32 s16, s19, s16
	s_addc_u32 s19, 0, s38
	s_add_u32 s16, s16, s37
	s_mul_i32 s34, s13, s34
	s_addc_u32 s16, s19, s36
	s_addc_u32 s19, s29, 0
	s_add_u32 s16, s16, s34
	s_addc_u32 s19, 0, s19
	v_add_co_u32 v2, s16, v2, s16
	s_delay_alu instid0(VALU_DEP_1) | instskip(SKIP_2) | instid1(SALU_CYCLE_1)
	s_cmp_lg_u32 s16, 0
	s_addc_u32 s13, s13, s19
	s_ashr_i32 s36, s15, 31
	s_add_u32 s38, s14, s36
	s_addc_u32 s39, s15, s36
	v_readfirstlane_b32 s15, v2
	s_mov_b32 s37, s36
	s_delay_alu instid0(SALU_CYCLE_1) | instskip(NEXT) | instid1(SALU_CYCLE_1)
	s_xor_b64 s[38:39], s[38:39], s[36:37]
	s_mul_i32 s19, s38, s13
	s_delay_alu instid0(VALU_DEP_1)
	s_mul_hi_u32 s29, s38, s15
	s_mul_hi_u32 s16, s38, s13
	;; [unrolled: 1-line block ×3, first 2 shown]
	s_mul_i32 s15, s39, s15
	s_add_u32 s19, s29, s19
	s_addc_u32 s16, 0, s16
	s_mul_hi_u32 s34, s39, s13
	s_add_u32 s15, s19, s15
	s_mul_i32 s13, s39, s13
	s_addc_u32 s15, s16, s40
	s_addc_u32 s16, s34, 0
	s_add_u32 s13, s15, s13
	s_addc_u32 s15, 0, s16
	s_mul_hi_u32 s16, s2, s13
	s_mul_i32 s15, s2, s15
	s_mul_i32 s29, s2, s13
	;; [unrolled: 1-line block ×3, first 2 shown]
	s_add_i32 s15, s16, s15
	v_sub_co_u32 v2, s16, s38, s29
	s_add_i32 s15, s15, s19
	s_delay_alu instid0(SALU_CYCLE_1) | instskip(SKIP_1) | instid1(VALU_DEP_1)
	s_sub_i32 s19, s39, s15
	s_cmp_lg_u32 s16, 0
	v_sub_co_u32 v3, s29, v2, s2
	s_subb_u32 s19, s19, s3
	s_cmp_lg_u32 s29, 0
	s_subb_u32 s19, s19, 0
	s_delay_alu instid0(VALU_DEP_1)
	v_cmp_le_u32_e32 vcc_lo, s2, v3
	s_cmp_ge_u32 s19, s3
	v_cmp_le_u32_e64 s2, s2, v2
	s_cselect_b32 s29, -1, 0
	s_cmp_eq_u32 s19, s3
	v_cndmask_b32_e64 v3, 0, -1, vcc_lo
	s_cselect_b32 vcc_lo, -1, 0
	s_add_u32 s19, s13, 1
	s_add_u32 s34, s13, 2
	s_cmp_lg_u32 s16, 0
	v_mov_b32_e32 v4, s34
	v_cndmask_b32_e64 v2, 0, -1, s2
	s_subb_u32 s2, s39, s15
	v_cndmask_b32_e32 v3, s29, v3, vcc_lo
	s_cmp_ge_u32 s2, s3
	s_cselect_b32 s15, -1, 0
	s_cmp_eq_u32 s2, s3
	s_cselect_b32 vcc_lo, -1, 0
	s_xor_b64 s[2:3], s[36:37], s[30:31]
	v_cndmask_b32_e32 v2, s15, v2, vcc_lo
	v_cmp_ne_u32_e32 vcc_lo, 0, v3
	v_cndmask_b32_e32 v3, s19, v4, vcc_lo
	s_delay_alu instid0(VALU_DEP_3) | instskip(NEXT) | instid1(VALU_DEP_2)
	v_cmp_ne_u32_e32 vcc_lo, 0, v2
	v_cndmask_b32_e32 v2, s13, v3, vcc_lo
	s_delay_alu instid0(VALU_DEP_1) | instskip(NEXT) | instid1(VALU_DEP_1)
	v_xor_b32_e32 v2, s2, v2
	v_sub_co_u32 v2, vcc_lo, v2, s2
	s_load_b32 s2, s[0:1], 0x5c
	s_and_not1_b32 vcc_lo, exec_lo, s28
	s_cbranch_vccnz .LBB2_10
.LBB2_9:
	v_cvt_f32_u32_e32 v2, s12
	s_sub_i32 s3, 0, s12
	s_delay_alu instid0(VALU_DEP_1) | instskip(SKIP_2) | instid1(VALU_DEP_1)
	v_rcp_iflag_f32_e32 v2, v2
	s_waitcnt_depctr 0xfff
	v_mul_f32_e32 v2, 0x4f7ffffe, v2
	v_cvt_u32_f32_e32 v2, v2
	s_delay_alu instid0(VALU_DEP_1) | instskip(NEXT) | instid1(VALU_DEP_1)
	v_mul_lo_u32 v3, s3, v2
	v_mul_hi_u32 v3, v2, v3
	s_delay_alu instid0(VALU_DEP_1) | instskip(NEXT) | instid1(VALU_DEP_1)
	v_add_nc_u32_e32 v2, v2, v3
	v_mul_hi_u32 v2, s14, v2
	s_delay_alu instid0(VALU_DEP_1) | instskip(SKIP_1) | instid1(VALU_DEP_2)
	v_mul_lo_u32 v3, v2, s12
	v_add_nc_u32_e32 v4, 1, v2
	v_sub_nc_u32_e32 v3, s14, v3
	s_delay_alu instid0(VALU_DEP_1) | instskip(SKIP_1) | instid1(VALU_DEP_2)
	v_subrev_nc_u32_e32 v5, s12, v3
	v_cmp_le_u32_e32 vcc_lo, s12, v3
	v_dual_cndmask_b32 v3, v3, v5 :: v_dual_cndmask_b32 v2, v2, v4
	s_delay_alu instid0(VALU_DEP_1) | instskip(NEXT) | instid1(VALU_DEP_2)
	v_cmp_le_u32_e32 vcc_lo, s12, v3
	v_add_nc_u32_e32 v4, 1, v2
	s_delay_alu instid0(VALU_DEP_1)
	v_cndmask_b32_e32 v2, v2, v4, vcc_lo
.LBB2_10:
	s_clause 0x1
	s_load_b128 s[12:15], s[0:1], 0x0
	s_load_b64 s[0:1], s[0:1], 0x10
	s_mul_i32 s3, s21, s20
	s_bfe_i64 s[30:31], s[26:27], 0x200000
	s_bfe_i64 s[28:29], s[22:23], 0x200000
	s_mul_hi_i32 s23, s21, s20
	s_mul_i32 s25, s3, s25
	s_mul_hi_u32 s27, s3, s24
	s_mul_i32 s23, s23, s24
	s_add_i32 s25, s27, s25
	s_mul_i32 s36, s3, s24
	s_add_i32 s37, s25, s23
	s_ashr_i32 s16, s20, 31
	s_lshl_b64 s[24:25], s[36:37], 1
	s_ashr_i32 s23, s21, 31
	s_waitcnt lgkmcnt(0)
	s_mul_hi_u32 s3, s6, s22
	s_mul_i32 s34, s6, s29
	s_mul_i32 s5, s5, s26
	s_mov_b32 s19, s20
	v_subrev_nc_u32_e32 v2, s22, v2
	s_add_u32 s24, s14, s24
	s_addc_u32 s25, s15, s25
	s_lshl_b64 s[14:15], s[36:37], 3
	v_cvt_f32_u32_e32 v4, s19
	s_add_u32 s27, s0, s14
	s_addc_u32 s28, s1, s15
	s_add_i32 s0, s3, s34
	s_mul_hi_u32 s3, s4, s26
	s_mul_i32 s14, s4, s31
	s_mul_i32 s1, s7, s22
	s_add_i32 s3, s3, s14
	s_add_i32 s1, s0, s1
	s_mul_i32 s0, s6, s22
	s_add_i32 s5, s3, s5
	s_mul_i32 s4, s4, s26
	s_lshl_b64 s[0:1], s[0:1], 1
	s_lshl_b64 s[4:5], s[4:5], 1
	s_and_b32 s29, s33, 0xffff
	s_ashr_i32 s30, s17, 31
	s_ashr_i32 s26, s18, 31
	s_add_u32 s0, s0, s4
	s_addc_u32 s1, s1, s5
	s_add_u32 s12, s12, s0
	s_addc_u32 s13, s13, s1
	s_ashr_i32 s31, s20, 31
	v_rcp_iflag_f32_e32 v4, v4
	s_add_i32 s0, s20, s31
	s_sub_i32 s1, 0, s20
	s_xor_b32 s33, s0, s31
	v_and_b32_e32 v0, 0x3ff, v0
	v_cvt_f32_u32_e32 v3, s33
	s_sub_i32 s0, 0, s33
	v_add_nc_u32_e32 v7, 1, v2
	s_mov_b32 s34, s21
	s_mul_i32 s35, s2, s35
	v_rcp_iflag_f32_e32 v3, v3
	s_waitcnt_depctr 0xfff
	v_mul_f32_e32 v4, 0x4f7ffffe, v4
	v_max_i32_e32 v16, 1, v7
	s_mov_b32 s36, s17
	s_mul_i32 s37, s22, s17
	s_lshl_b64 s[8:9], s[8:9], 1
	v_cvt_u32_f32_e32 v4, v4
	s_lshl_b64 s[10:11], s[10:11], 1
	s_lshl_b64 s[6:7], s[6:7], 1
	s_mul_i32 s38, s18, s17
	v_mul_f32_e32 v3, 0x4f7ffffe, v3
	v_mul_lo_u32 v6, s1, v4
	v_cmp_gt_u32_e64 s1, 0x7fffffff, v2
	s_mov_b32 s39, 0
	s_delay_alu instid0(VALU_DEP_3) | instskip(NEXT) | instid1(VALU_DEP_3)
	v_cvt_u32_f32_e32 v5, v3
	v_mul_hi_u32 v6, v4, v6
	s_delay_alu instid0(VALU_DEP_2) | instskip(NEXT) | instid1(VALU_DEP_2)
	v_mul_lo_u32 v3, s0, v5
	v_add_nc_u32_e32 v18, v4, v6
	s_delay_alu instid0(VALU_DEP_2) | instskip(SKIP_2) | instid1(VALU_DEP_3)
	v_mul_hi_u32 v8, v5, v3
	v_mov_b32_e32 v3, 0
	v_cmp_gt_i32_e64 s0, s21, v0
	v_add_nc_u32_e32 v17, v5, v8
	s_branch .LBB2_12
.LBB2_11:                               ;   in Loop: Header=BB2_12 Depth=1
	s_or_b32 exec_lo, exec_lo, s40
	v_add_nc_u32_e32 v1, s35, v1
	s_delay_alu instid0(VALU_DEP_1) | instskip(SKIP_1) | instid1(SALU_CYCLE_1)
	v_cmp_le_i32_e32 vcc_lo, s20, v1
	s_or_b32 s39, vcc_lo, s39
	s_and_not1_b32 exec_lo, exec_lo, s39
	s_cbranch_execz .LBB2_50
.LBB2_12:                               ; =>This Loop Header: Depth=1
                                        ;     Child Loop BB2_27 Depth 2
                                        ;       Child Loop BB2_43 Depth 3
                                        ;         Child Loop BB2_46 Depth 4
                                        ;           Child Loop BB2_48 Depth 5
	v_ashrrev_i32_e32 v7, 31, v1
	v_mov_b32_e32 v4, v3
	s_delay_alu instid0(VALU_DEP_2) | instskip(NEXT) | instid1(VALU_DEP_1)
	v_or_b32_e32 v5, s16, v7
	v_cmp_ne_u64_e32 vcc_lo, 0, v[4:5]
                                        ; implicit-def: $vgpr4_vgpr5
	s_and_saveexec_b32 s2, vcc_lo
	s_delay_alu instid0(SALU_CYCLE_1)
	s_xor_b32 s2, exec_lo, s2
	s_cbranch_execz .LBB2_14
; %bb.13:                               ;   in Loop: Header=BB2_12 Depth=1
	v_ashrrev_i32_e32 v2, 31, v1
	s_delay_alu instid0(VALU_DEP_1) | instskip(NEXT) | instid1(VALU_DEP_1)
	v_add_nc_u32_e32 v4, v1, v2
	v_xor_b32_e32 v4, v4, v2
	v_xor_b32_e32 v2, s31, v2
	s_delay_alu instid0(VALU_DEP_2) | instskip(NEXT) | instid1(VALU_DEP_1)
	v_mul_hi_u32 v5, v4, v17
	v_mul_lo_u32 v6, v5, s33
	s_delay_alu instid0(VALU_DEP_1) | instskip(SKIP_1) | instid1(VALU_DEP_2)
	v_sub_nc_u32_e32 v4, v4, v6
	v_add_nc_u32_e32 v6, 1, v5
	v_subrev_nc_u32_e32 v8, s33, v4
	v_cmp_le_u32_e32 vcc_lo, s33, v4
	s_delay_alu instid0(VALU_DEP_2) | instskip(NEXT) | instid1(VALU_DEP_1)
	v_dual_cndmask_b32 v4, v4, v8 :: v_dual_cndmask_b32 v5, v5, v6
	v_cmp_le_u32_e32 vcc_lo, s33, v4
	s_delay_alu instid0(VALU_DEP_2) | instskip(NEXT) | instid1(VALU_DEP_1)
	v_add_nc_u32_e32 v6, 1, v5
	v_cndmask_b32_e32 v4, v5, v6, vcc_lo
	s_delay_alu instid0(VALU_DEP_1) | instskip(NEXT) | instid1(VALU_DEP_1)
	v_xor_b32_e32 v4, v4, v2
	v_sub_nc_u32_e32 v4, v4, v2
	s_delay_alu instid0(VALU_DEP_1)
	v_ashrrev_i32_e32 v5, 31, v4
.LBB2_14:                               ;   in Loop: Header=BB2_12 Depth=1
	s_and_not1_saveexec_b32 s2, s2
	s_cbranch_execz .LBB2_16
; %bb.15:                               ;   in Loop: Header=BB2_12 Depth=1
	v_mul_hi_u32 v2, v1, v18
	s_delay_alu instid0(VALU_DEP_1) | instskip(SKIP_1) | instid1(VALU_DEP_2)
	v_mul_lo_u32 v4, v2, s19
	v_add_nc_u32_e32 v5, 1, v2
	v_sub_nc_u32_e32 v4, v1, v4
	s_delay_alu instid0(VALU_DEP_1) | instskip(SKIP_1) | instid1(VALU_DEP_2)
	v_subrev_nc_u32_e32 v6, s19, v4
	v_cmp_le_u32_e32 vcc_lo, s19, v4
	v_cndmask_b32_e32 v4, v4, v6, vcc_lo
	v_cndmask_b32_e32 v2, v2, v5, vcc_lo
	s_delay_alu instid0(VALU_DEP_2) | instskip(NEXT) | instid1(VALU_DEP_2)
	v_cmp_le_u32_e32 vcc_lo, s19, v4
	v_add_nc_u32_e32 v5, 1, v2
	s_delay_alu instid0(VALU_DEP_1) | instskip(NEXT) | instid1(VALU_DEP_1)
	v_cndmask_b32_e32 v2, v2, v5, vcc_lo
	v_dual_mov_b32 v5, v3 :: v_dual_mov_b32 v4, v2
.LBB2_16:                               ;   in Loop: Header=BB2_12 Depth=1
	s_or_b32 exec_lo, exec_lo, s2
	s_delay_alu instid0(VALU_DEP_1) | instskip(NEXT) | instid1(VALU_DEP_2)
	v_mul_lo_u32 v2, v5, s19
	v_mul_lo_u32 v8, v4, s16
	v_mad_u64_u32 v[5:6], null, v4, s19, 0
	s_delay_alu instid0(VALU_DEP_1) | instskip(NEXT) | instid1(VALU_DEP_2)
	v_add3_u32 v2, v6, v8, v2
	v_sub_co_u32 v8, vcc_lo, v1, v5
	s_delay_alu instid0(VALU_DEP_2) | instskip(NEXT) | instid1(VALU_DEP_2)
	v_sub_co_ci_u32_e32 v2, vcc_lo, v7, v2, vcc_lo
	v_mul_lo_u32 v9, v8, s30
	v_mad_u64_u32 v[5:6], null, v8, s36, 0
	s_delay_alu instid0(VALU_DEP_3) | instskip(SKIP_1) | instid1(VALU_DEP_2)
	v_mul_lo_u32 v2, v2, s36
	v_mov_b32_e32 v8, v3
	v_add3_u32 v6, v6, v9, v2
	s_delay_alu instid0(VALU_DEP_1) | instskip(NEXT) | instid1(VALU_DEP_1)
	v_or_b32_e32 v9, s16, v6
	v_cmp_ne_u64_e32 vcc_lo, 0, v[8:9]
                                        ; implicit-def: $vgpr8_vgpr9
	s_and_saveexec_b32 s2, vcc_lo
	s_delay_alu instid0(SALU_CYCLE_1)
	s_xor_b32 s3, exec_lo, s2
	s_cbranch_execz .LBB2_18
; %bb.17:                               ;   in Loop: Header=BB2_12 Depth=1
	s_add_u32 s14, s19, s16
	s_mov_b32 s4, s16
	s_mov_b32 s5, s16
	s_addc_u32 s15, s16, s16
	s_delay_alu instid0(SALU_CYCLE_1) | instskip(NEXT) | instid1(SALU_CYCLE_1)
	s_xor_b64 s[14:15], s[14:15], s[4:5]
	v_cvt_f32_u32_e32 v2, s14
	v_cvt_f32_u32_e32 v8, s15
	s_sub_u32 s2, 0, s14
	s_subb_u32 s40, 0, s15
	s_delay_alu instid0(VALU_DEP_1) | instskip(NEXT) | instid1(VALU_DEP_1)
	v_fmac_f32_e32 v2, 0x4f800000, v8
	v_rcp_f32_e32 v2, v2
	s_waitcnt_depctr 0xfff
	v_mul_f32_e32 v2, 0x5f7ffffc, v2
	s_delay_alu instid0(VALU_DEP_1) | instskip(NEXT) | instid1(VALU_DEP_1)
	v_mul_f32_e32 v8, 0x2f800000, v2
	v_trunc_f32_e32 v8, v8
	s_delay_alu instid0(VALU_DEP_1) | instskip(SKIP_1) | instid1(VALU_DEP_2)
	v_fmac_f32_e32 v2, 0xcf800000, v8
	v_cvt_u32_f32_e32 v8, v8
	v_cvt_u32_f32_e32 v2, v2
	s_delay_alu instid0(VALU_DEP_2) | instskip(NEXT) | instid1(VALU_DEP_2)
	v_mul_lo_u32 v9, s2, v8
	v_mul_hi_u32 v10, s2, v2
	v_mul_lo_u32 v11, s40, v2
	s_delay_alu instid0(VALU_DEP_2) | instskip(SKIP_1) | instid1(VALU_DEP_2)
	v_add_nc_u32_e32 v9, v10, v9
	v_mul_lo_u32 v10, s2, v2
	v_add_nc_u32_e32 v9, v9, v11
	s_delay_alu instid0(VALU_DEP_2) | instskip(NEXT) | instid1(VALU_DEP_2)
	v_mul_hi_u32 v11, v2, v10
	v_mul_lo_u32 v12, v2, v9
	v_mul_hi_u32 v13, v2, v9
	v_mul_hi_u32 v14, v8, v10
	v_mul_lo_u32 v10, v8, v10
	v_mul_hi_u32 v15, v8, v9
	v_mul_lo_u32 v9, v8, v9
	v_add_co_u32 v11, vcc_lo, v11, v12
	v_add_co_ci_u32_e32 v12, vcc_lo, 0, v13, vcc_lo
	s_delay_alu instid0(VALU_DEP_2) | instskip(NEXT) | instid1(VALU_DEP_2)
	v_add_co_u32 v10, vcc_lo, v11, v10
	v_add_co_ci_u32_e32 v10, vcc_lo, v12, v14, vcc_lo
	v_add_co_ci_u32_e32 v11, vcc_lo, 0, v15, vcc_lo
	v_ashrrev_i32_e32 v14, 31, v6
	s_delay_alu instid0(VALU_DEP_3) | instskip(NEXT) | instid1(VALU_DEP_3)
	v_add_co_u32 v9, vcc_lo, v10, v9
	v_add_co_ci_u32_e32 v10, vcc_lo, 0, v11, vcc_lo
	s_delay_alu instid0(VALU_DEP_2) | instskip(NEXT) | instid1(VALU_DEP_2)
	v_add_co_u32 v2, vcc_lo, v2, v9
	v_add_co_ci_u32_e32 v8, vcc_lo, v8, v10, vcc_lo
	s_delay_alu instid0(VALU_DEP_2) | instskip(SKIP_1) | instid1(VALU_DEP_3)
	v_mul_hi_u32 v9, s2, v2
	v_mul_lo_u32 v11, s40, v2
	v_mul_lo_u32 v10, s2, v8
	s_delay_alu instid0(VALU_DEP_1) | instskip(SKIP_1) | instid1(VALU_DEP_2)
	v_add_nc_u32_e32 v9, v9, v10
	v_mul_lo_u32 v10, s2, v2
	v_add_nc_u32_e32 v9, v9, v11
	s_delay_alu instid0(VALU_DEP_2) | instskip(NEXT) | instid1(VALU_DEP_2)
	v_mul_hi_u32 v11, v2, v10
	v_mul_lo_u32 v12, v2, v9
	v_mul_hi_u32 v13, v2, v9
	v_mul_hi_u32 v15, v8, v10
	v_mul_lo_u32 v10, v8, v10
	v_mul_hi_u32 v19, v8, v9
	v_mul_lo_u32 v9, v8, v9
	v_add_co_u32 v11, vcc_lo, v11, v12
	v_add_co_ci_u32_e32 v12, vcc_lo, 0, v13, vcc_lo
	s_delay_alu instid0(VALU_DEP_2) | instskip(NEXT) | instid1(VALU_DEP_2)
	v_add_co_u32 v10, vcc_lo, v11, v10
	v_add_co_ci_u32_e32 v10, vcc_lo, v12, v15, vcc_lo
	v_add_co_ci_u32_e32 v11, vcc_lo, 0, v19, vcc_lo
	v_add_co_u32 v5, vcc_lo, v5, v14
	v_add_co_ci_u32_e32 v6, vcc_lo, v6, v14, vcc_lo
	s_delay_alu instid0(VALU_DEP_4) | instskip(NEXT) | instid1(VALU_DEP_4)
	v_add_co_u32 v9, vcc_lo, v10, v9
	v_add_co_ci_u32_e32 v10, vcc_lo, 0, v11, vcc_lo
	s_delay_alu instid0(VALU_DEP_4) | instskip(NEXT) | instid1(VALU_DEP_3)
	v_xor_b32_e32 v12, v5, v14
	v_add_co_u32 v2, vcc_lo, v2, v9
	s_delay_alu instid0(VALU_DEP_3) | instskip(SKIP_1) | instid1(VALU_DEP_3)
	v_add_co_ci_u32_e32 v13, vcc_lo, v8, v10, vcc_lo
	v_xor_b32_e32 v15, v6, v14
	v_mul_hi_u32 v19, v12, v2
	s_delay_alu instid0(VALU_DEP_3) | instskip(NEXT) | instid1(VALU_DEP_3)
	v_mad_u64_u32 v[5:6], null, v12, v13, 0
	v_mad_u64_u32 v[8:9], null, v15, v2, 0
	v_mad_u64_u32 v[10:11], null, v15, v13, 0
	s_delay_alu instid0(VALU_DEP_3) | instskip(NEXT) | instid1(VALU_DEP_4)
	v_add_co_u32 v2, vcc_lo, v19, v5
	v_add_co_ci_u32_e32 v5, vcc_lo, 0, v6, vcc_lo
	s_delay_alu instid0(VALU_DEP_2) | instskip(NEXT) | instid1(VALU_DEP_2)
	v_add_co_u32 v2, vcc_lo, v2, v8
	v_add_co_ci_u32_e32 v2, vcc_lo, v5, v9, vcc_lo
	v_add_co_ci_u32_e32 v5, vcc_lo, 0, v11, vcc_lo
	s_delay_alu instid0(VALU_DEP_2) | instskip(NEXT) | instid1(VALU_DEP_2)
	v_add_co_u32 v2, vcc_lo, v2, v10
	v_add_co_ci_u32_e32 v8, vcc_lo, 0, v5, vcc_lo
	s_delay_alu instid0(VALU_DEP_2) | instskip(SKIP_1) | instid1(VALU_DEP_3)
	v_mul_lo_u32 v9, s15, v2
	v_mad_u64_u32 v[5:6], null, s14, v2, 0
	v_mul_lo_u32 v10, s14, v8
	s_delay_alu instid0(VALU_DEP_2) | instskip(NEXT) | instid1(VALU_DEP_2)
	v_sub_co_u32 v5, vcc_lo, v12, v5
	v_add3_u32 v6, v6, v10, v9
	s_delay_alu instid0(VALU_DEP_1) | instskip(NEXT) | instid1(VALU_DEP_1)
	v_sub_nc_u32_e32 v9, v15, v6
	v_subrev_co_ci_u32_e64 v9, s2, s15, v9, vcc_lo
	v_add_co_u32 v10, s2, v2, 2
	s_delay_alu instid0(VALU_DEP_1) | instskip(SKIP_3) | instid1(VALU_DEP_3)
	v_add_co_ci_u32_e64 v11, s2, 0, v8, s2
	v_sub_co_u32 v12, s2, v5, s14
	v_sub_co_ci_u32_e32 v6, vcc_lo, v15, v6, vcc_lo
	v_subrev_co_ci_u32_e64 v9, s2, 0, v9, s2
	v_cmp_le_u32_e32 vcc_lo, s14, v12
	s_delay_alu instid0(VALU_DEP_3) | instskip(SKIP_1) | instid1(VALU_DEP_4)
	v_cmp_eq_u32_e64 s2, s15, v6
	v_cndmask_b32_e64 v12, 0, -1, vcc_lo
	v_cmp_le_u32_e32 vcc_lo, s15, v9
	v_cndmask_b32_e64 v13, 0, -1, vcc_lo
	v_cmp_le_u32_e32 vcc_lo, s14, v5
	;; [unrolled: 2-line block ×3, first 2 shown]
	v_cndmask_b32_e64 v15, 0, -1, vcc_lo
	v_cmp_eq_u32_e32 vcc_lo, s15, v9
	s_delay_alu instid0(VALU_DEP_2) | instskip(SKIP_3) | instid1(VALU_DEP_3)
	v_cndmask_b32_e64 v5, v15, v5, s2
	v_cndmask_b32_e32 v9, v13, v12, vcc_lo
	v_add_co_u32 v12, vcc_lo, v2, 1
	v_add_co_ci_u32_e32 v13, vcc_lo, 0, v8, vcc_lo
	v_cmp_ne_u32_e32 vcc_lo, 0, v9
	s_delay_alu instid0(VALU_DEP_2) | instskip(SKIP_2) | instid1(VALU_DEP_3)
	v_dual_cndmask_b32 v6, v13, v11 :: v_dual_cndmask_b32 v9, v12, v10
	v_cmp_ne_u32_e32 vcc_lo, 0, v5
	v_xor_b32_e32 v5, s4, v14
	v_cndmask_b32_e32 v2, v2, v9, vcc_lo
	s_delay_alu instid0(VALU_DEP_4) | instskip(SKIP_1) | instid1(VALU_DEP_3)
	v_cndmask_b32_e32 v6, v8, v6, vcc_lo
	v_xor_b32_e32 v9, s5, v14
	v_xor_b32_e32 v2, v2, v5
	s_delay_alu instid0(VALU_DEP_2) | instskip(NEXT) | instid1(VALU_DEP_2)
	v_xor_b32_e32 v6, v6, v9
	v_sub_co_u32 v8, vcc_lo, v2, v5
	s_delay_alu instid0(VALU_DEP_2)
	v_sub_co_ci_u32_e32 v9, vcc_lo, v6, v9, vcc_lo
                                        ; implicit-def: $vgpr5_vgpr6
.LBB2_18:                               ;   in Loop: Header=BB2_12 Depth=1
	s_and_not1_saveexec_b32 s2, s3
; %bb.19:                               ;   in Loop: Header=BB2_12 Depth=1
	v_mul_hi_u32 v2, v5, v18
	s_delay_alu instid0(VALU_DEP_1) | instskip(NEXT) | instid1(VALU_DEP_1)
	v_mul_lo_u32 v6, v2, s19
	v_sub_nc_u32_e32 v5, v5, v6
	s_delay_alu instid0(VALU_DEP_1) | instskip(SKIP_1) | instid1(VALU_DEP_2)
	v_subrev_nc_u32_e32 v8, s19, v5
	v_cmp_le_u32_e32 vcc_lo, s19, v5
	v_dual_cndmask_b32 v5, v5, v8 :: v_dual_add_nc_u32 v6, 1, v2
	s_delay_alu instid0(VALU_DEP_1) | instskip(NEXT) | instid1(VALU_DEP_2)
	v_cndmask_b32_e32 v2, v2, v6, vcc_lo
	v_cmp_le_u32_e32 vcc_lo, s19, v5
	s_delay_alu instid0(VALU_DEP_2) | instskip(NEXT) | instid1(VALU_DEP_1)
	v_add_nc_u32_e32 v6, 1, v2
	v_cndmask_b32_e32 v2, v2, v6, vcc_lo
	s_delay_alu instid0(VALU_DEP_1)
	v_dual_mov_b32 v9, v3 :: v_dual_mov_b32 v8, v2
; %bb.20:                               ;   in Loop: Header=BB2_12 Depth=1
	s_or_b32 exec_lo, exec_lo, s2
	v_add_co_u32 v2, vcc_lo, v1, 1
	v_add_co_ci_u32_e32 v5, vcc_lo, 0, v7, vcc_lo
	s_delay_alu instid0(VALU_DEP_2) | instskip(NEXT) | instid1(VALU_DEP_2)
	v_mul_lo_u32 v7, v2, s30
	v_mul_lo_u32 v10, v5, s36
	v_mad_u64_u32 v[5:6], null, v2, s36, -1
	s_delay_alu instid0(VALU_DEP_1) | instskip(SKIP_1) | instid1(VALU_DEP_2)
	v_add3_u32 v6, v10, v6, v7
	v_mov_b32_e32 v10, v3
	v_or_b32_e32 v11, s16, v6
	s_delay_alu instid0(VALU_DEP_1) | instskip(SKIP_1) | instid1(SALU_CYCLE_1)
	v_cmp_ne_u64_e32 vcc_lo, 0, v[10:11]
                                        ; implicit-def: $vgpr10_vgpr11
	s_and_saveexec_b32 s2, vcc_lo
	s_xor_b32 s3, exec_lo, s2
	s_cbranch_execnz .LBB2_23
; %bb.21:                               ;   in Loop: Header=BB2_12 Depth=1
	s_and_not1_saveexec_b32 s2, s3
	s_cbranch_execnz .LBB2_24
.LBB2_22:                               ;   in Loop: Header=BB2_12 Depth=1
	s_or_b32 exec_lo, exec_lo, s2
	s_and_saveexec_b32 s40, s0
	s_cbranch_execz .LBB2_11
	s_branch .LBB2_25
.LBB2_23:                               ;   in Loop: Header=BB2_12 Depth=1
	s_add_u32 s14, s19, s16
	s_mov_b32 s4, s16
	s_mov_b32 s5, s16
	s_addc_u32 s15, s16, s16
	s_delay_alu instid0(SALU_CYCLE_1) | instskip(NEXT) | instid1(SALU_CYCLE_1)
	s_xor_b64 s[14:15], s[14:15], s[4:5]
	v_cvt_f32_u32_e32 v2, s14
	v_cvt_f32_u32_e32 v7, s15
	s_sub_u32 s2, 0, s14
	s_subb_u32 s5, 0, s15
	s_delay_alu instid0(VALU_DEP_1) | instskip(NEXT) | instid1(VALU_DEP_1)
	v_fmac_f32_e32 v2, 0x4f800000, v7
	v_rcp_f32_e32 v2, v2
	s_waitcnt_depctr 0xfff
	v_mul_f32_e32 v2, 0x5f7ffffc, v2
	s_delay_alu instid0(VALU_DEP_1) | instskip(NEXT) | instid1(VALU_DEP_1)
	v_mul_f32_e32 v7, 0x2f800000, v2
	v_trunc_f32_e32 v7, v7
	s_delay_alu instid0(VALU_DEP_1) | instskip(SKIP_1) | instid1(VALU_DEP_2)
	v_fmac_f32_e32 v2, 0xcf800000, v7
	v_cvt_u32_f32_e32 v7, v7
	v_cvt_u32_f32_e32 v2, v2
	s_delay_alu instid0(VALU_DEP_2) | instskip(NEXT) | instid1(VALU_DEP_2)
	v_mul_lo_u32 v10, s2, v7
	v_mul_hi_u32 v11, s2, v2
	v_mul_lo_u32 v12, s5, v2
	s_delay_alu instid0(VALU_DEP_2) | instskip(SKIP_1) | instid1(VALU_DEP_2)
	v_add_nc_u32_e32 v10, v11, v10
	v_mul_lo_u32 v11, s2, v2
	v_add_nc_u32_e32 v10, v10, v12
	s_delay_alu instid0(VALU_DEP_2) | instskip(NEXT) | instid1(VALU_DEP_2)
	v_mul_hi_u32 v12, v2, v11
	v_mul_lo_u32 v13, v2, v10
	v_mul_hi_u32 v14, v2, v10
	v_mul_hi_u32 v15, v7, v11
	v_mul_lo_u32 v11, v7, v11
	v_mul_hi_u32 v19, v7, v10
	v_mul_lo_u32 v10, v7, v10
	v_add_co_u32 v12, vcc_lo, v12, v13
	v_add_co_ci_u32_e32 v13, vcc_lo, 0, v14, vcc_lo
	s_delay_alu instid0(VALU_DEP_2) | instskip(NEXT) | instid1(VALU_DEP_2)
	v_add_co_u32 v11, vcc_lo, v12, v11
	v_add_co_ci_u32_e32 v11, vcc_lo, v13, v15, vcc_lo
	v_add_co_ci_u32_e32 v12, vcc_lo, 0, v19, vcc_lo
	v_ashrrev_i32_e32 v15, 31, v6
	s_delay_alu instid0(VALU_DEP_3) | instskip(NEXT) | instid1(VALU_DEP_3)
	v_add_co_u32 v10, vcc_lo, v11, v10
	v_add_co_ci_u32_e32 v11, vcc_lo, 0, v12, vcc_lo
	s_delay_alu instid0(VALU_DEP_2) | instskip(NEXT) | instid1(VALU_DEP_2)
	v_add_co_u32 v2, vcc_lo, v2, v10
	v_add_co_ci_u32_e32 v7, vcc_lo, v7, v11, vcc_lo
	s_delay_alu instid0(VALU_DEP_2) | instskip(SKIP_1) | instid1(VALU_DEP_3)
	v_mul_hi_u32 v10, s2, v2
	v_mul_lo_u32 v12, s5, v2
	v_mul_lo_u32 v11, s2, v7
	s_delay_alu instid0(VALU_DEP_1) | instskip(SKIP_1) | instid1(VALU_DEP_2)
	v_add_nc_u32_e32 v10, v10, v11
	v_mul_lo_u32 v11, s2, v2
	v_add_nc_u32_e32 v10, v10, v12
	s_delay_alu instid0(VALU_DEP_2) | instskip(NEXT) | instid1(VALU_DEP_2)
	v_mul_hi_u32 v12, v2, v11
	v_mul_lo_u32 v13, v2, v10
	v_mul_hi_u32 v14, v2, v10
	v_mul_hi_u32 v19, v7, v11
	v_mul_lo_u32 v11, v7, v11
	v_mul_hi_u32 v20, v7, v10
	v_mul_lo_u32 v10, v7, v10
	v_add_co_u32 v12, vcc_lo, v12, v13
	v_add_co_ci_u32_e32 v13, vcc_lo, 0, v14, vcc_lo
	s_delay_alu instid0(VALU_DEP_2) | instskip(NEXT) | instid1(VALU_DEP_2)
	v_add_co_u32 v11, vcc_lo, v12, v11
	v_add_co_ci_u32_e32 v11, vcc_lo, v13, v19, vcc_lo
	v_add_co_ci_u32_e32 v12, vcc_lo, 0, v20, vcc_lo
	v_add_co_u32 v5, vcc_lo, v5, v15
	v_add_co_ci_u32_e32 v6, vcc_lo, v6, v15, vcc_lo
	s_delay_alu instid0(VALU_DEP_4) | instskip(NEXT) | instid1(VALU_DEP_4)
	v_add_co_u32 v10, vcc_lo, v11, v10
	v_add_co_ci_u32_e32 v11, vcc_lo, 0, v12, vcc_lo
	s_delay_alu instid0(VALU_DEP_4) | instskip(NEXT) | instid1(VALU_DEP_3)
	v_xor_b32_e32 v14, v5, v15
	v_add_co_u32 v2, vcc_lo, v2, v10
	s_delay_alu instid0(VALU_DEP_3) | instskip(SKIP_1) | instid1(VALU_DEP_3)
	v_add_co_ci_u32_e32 v7, vcc_lo, v7, v11, vcc_lo
	v_xor_b32_e32 v19, v6, v15
	v_mul_hi_u32 v20, v14, v2
	s_delay_alu instid0(VALU_DEP_3) | instskip(NEXT) | instid1(VALU_DEP_3)
	v_mad_u64_u32 v[5:6], null, v14, v7, 0
	v_mad_u64_u32 v[10:11], null, v19, v2, 0
	;; [unrolled: 1-line block ×3, first 2 shown]
	s_delay_alu instid0(VALU_DEP_3) | instskip(NEXT) | instid1(VALU_DEP_4)
	v_add_co_u32 v2, vcc_lo, v20, v5
	v_add_co_ci_u32_e32 v5, vcc_lo, 0, v6, vcc_lo
	s_delay_alu instid0(VALU_DEP_2) | instskip(NEXT) | instid1(VALU_DEP_2)
	v_add_co_u32 v2, vcc_lo, v2, v10
	v_add_co_ci_u32_e32 v2, vcc_lo, v5, v11, vcc_lo
	v_add_co_ci_u32_e32 v5, vcc_lo, 0, v13, vcc_lo
	s_delay_alu instid0(VALU_DEP_2) | instskip(NEXT) | instid1(VALU_DEP_2)
	v_add_co_u32 v2, vcc_lo, v2, v12
	v_add_co_ci_u32_e32 v7, vcc_lo, 0, v5, vcc_lo
	s_delay_alu instid0(VALU_DEP_2) | instskip(SKIP_1) | instid1(VALU_DEP_3)
	v_mul_lo_u32 v10, s15, v2
	v_mad_u64_u32 v[5:6], null, s14, v2, 0
	v_mul_lo_u32 v7, s14, v7
	s_delay_alu instid0(VALU_DEP_2) | instskip(NEXT) | instid1(VALU_DEP_2)
	v_sub_co_u32 v5, vcc_lo, v14, v5
	v_add3_u32 v6, v6, v7, v10
	v_add_co_u32 v10, s2, v2, 2
	s_delay_alu instid0(VALU_DEP_2) | instskip(NEXT) | instid1(VALU_DEP_1)
	v_sub_nc_u32_e32 v7, v19, v6
	v_subrev_co_ci_u32_e64 v7, s2, s15, v7, vcc_lo
	v_sub_co_u32 v11, s2, v5, s14
	v_sub_co_ci_u32_e32 v6, vcc_lo, v19, v6, vcc_lo
	s_delay_alu instid0(VALU_DEP_3) | instskip(NEXT) | instid1(VALU_DEP_3)
	v_subrev_co_ci_u32_e64 v7, s2, 0, v7, s2
	v_cmp_le_u32_e32 vcc_lo, s14, v11
	v_cndmask_b32_e64 v11, 0, -1, vcc_lo
	s_delay_alu instid0(VALU_DEP_3)
	v_cmp_le_u32_e32 vcc_lo, s15, v7
	v_cndmask_b32_e64 v12, 0, -1, vcc_lo
	v_cmp_le_u32_e32 vcc_lo, s14, v5
	v_cndmask_b32_e64 v5, 0, -1, vcc_lo
	;; [unrolled: 2-line block ×3, first 2 shown]
	v_cmp_eq_u32_e32 vcc_lo, s15, v7
	v_cndmask_b32_e32 v7, v12, v11, vcc_lo
	v_add_co_u32 v11, vcc_lo, v2, 1
	v_cmp_eq_u32_e32 vcc_lo, s15, v6
	v_cndmask_b32_e32 v5, v13, v5, vcc_lo
	s_delay_alu instid0(VALU_DEP_4) | instskip(NEXT) | instid1(VALU_DEP_4)
	v_cmp_ne_u32_e32 vcc_lo, 0, v7
	v_cndmask_b32_e32 v6, v11, v10, vcc_lo
	s_delay_alu instid0(VALU_DEP_3) | instskip(SKIP_1) | instid1(VALU_DEP_3)
	v_cmp_ne_u32_e32 vcc_lo, 0, v5
	v_xor_b32_e32 v5, s4, v15
	v_cndmask_b32_e32 v2, v2, v6, vcc_lo
	s_delay_alu instid0(VALU_DEP_1) | instskip(NEXT) | instid1(VALU_DEP_1)
	v_xor_b32_e32 v2, v2, v5
	v_sub_co_u32 v10, vcc_lo, v2, v5
                                        ; implicit-def: $vgpr5_vgpr6
	s_and_not1_saveexec_b32 s2, s3
	s_cbranch_execz .LBB2_22
.LBB2_24:                               ;   in Loop: Header=BB2_12 Depth=1
	v_mul_hi_u32 v2, v5, v18
	s_delay_alu instid0(VALU_DEP_1) | instskip(NEXT) | instid1(VALU_DEP_1)
	v_mul_lo_u32 v6, v2, s19
	v_sub_nc_u32_e32 v5, v5, v6
	s_delay_alu instid0(VALU_DEP_1) | instskip(SKIP_1) | instid1(VALU_DEP_2)
	v_subrev_nc_u32_e32 v7, s19, v5
	v_cmp_le_u32_e32 vcc_lo, s19, v5
	v_dual_cndmask_b32 v5, v5, v7 :: v_dual_add_nc_u32 v6, 1, v2
	s_delay_alu instid0(VALU_DEP_1) | instskip(NEXT) | instid1(VALU_DEP_2)
	v_cndmask_b32_e32 v2, v2, v6, vcc_lo
	v_cmp_le_u32_e32 vcc_lo, s19, v5
	s_delay_alu instid0(VALU_DEP_2) | instskip(NEXT) | instid1(VALU_DEP_1)
	v_add_nc_u32_e32 v6, 1, v2
	v_cndmask_b32_e32 v10, v2, v6, vcc_lo
	s_or_b32 exec_lo, exec_lo, s2
	s_and_saveexec_b32 s40, s0
	s_cbranch_execz .LBB2_11
.LBB2_25:                               ;   in Loop: Header=BB2_12 Depth=1
	v_mul_lo_u32 v6, v1, s21
	v_mad_u64_u32 v[11:12], null, v4, s36, v[8:9]
	v_add_nc_u32_e32 v2, s22, v4
	s_mov_b32 s41, 0
	s_delay_alu instid0(VALU_DEP_3) | instskip(NEXT) | instid1(VALU_DEP_3)
	v_ashrrev_i32_e32 v7, 31, v6
	v_sub_nc_u32_e32 v12, v10, v11
	v_ashrrev_i32_e32 v13, 31, v11
	v_add_nc_u32_e32 v14, s37, v11
	v_mul_lo_u32 v15, s9, v11
	v_lshlrev_b64 v[9:10], 1, v[6:7]
	v_lshlrev_b64 v[6:7], 3, v[6:7]
	v_mad_u64_u32 v[4:5], null, s8, v11, s[12:13]
	v_mul_lo_u32 v11, s8, v13
	v_add_nc_u32_e32 v19, 1, v12
	v_add_co_u32 v20, vcc_lo, s24, v9
	v_add_co_ci_u32_e32 v21, vcc_lo, s25, v10, vcc_lo
	v_add_co_u32 v22, vcc_lo, s27, v6
	v_add_co_ci_u32_e32 v23, vcc_lo, s28, v7, vcc_lo
	v_mul_lo_u32 v24, v14, s18
	v_mad_u64_u32 v[6:7], null, s17, v2, v[8:9]
	v_mov_b32_e32 v2, v0
	v_cmp_lt_i32_e64 s2, 0, v19
	v_add3_u32 v5, v15, v5, v11
	s_branch .LBB2_27
.LBB2_26:                               ;   in Loop: Header=BB2_27 Depth=2
	v_lshlrev_b64 v[7:8], 1, v[2:3]
	v_lshlrev_b64 v[11:12], 3, v[2:3]
	v_add_nc_u32_e32 v2, s29, v2
	s_delay_alu instid0(VALU_DEP_3) | instskip(NEXT) | instid1(VALU_DEP_4)
	v_add_co_u32 v7, vcc_lo, v20, v7
	v_add_co_ci_u32_e32 v8, vcc_lo, v21, v8, vcc_lo
	s_delay_alu instid0(VALU_DEP_3) | instskip(SKIP_1) | instid1(VALU_DEP_1)
	v_cmp_le_i32_e32 vcc_lo, s21, v2
	v_add_co_u32 v11, s3, v22, v11
	v_add_co_ci_u32_e64 v12, s3, v23, v12, s3
	s_or_b32 s41, vcc_lo, s41
	global_store_b16 v[7:8], v25, off
	global_store_b64 v[11:12], v[9:10], off
	s_and_not1_b32 exec_lo, exec_lo, s41
	s_cbranch_execz .LBB2_11
.LBB2_27:                               ;   Parent Loop BB2_12 Depth=1
                                        ; =>  This Loop Header: Depth=2
                                        ;       Child Loop BB2_43 Depth 3
                                        ;         Child Loop BB2_46 Depth 4
                                        ;           Child Loop BB2_48 Depth 5
	v_or_b32_e64 v8, 0, s23
	v_mov_b32_e32 v7, v3
	s_delay_alu instid0(VALU_DEP_1) | instskip(SKIP_1) | instid1(SALU_CYCLE_1)
	v_cmp_ne_u64_e32 vcc_lo, 0, v[7:8]
                                        ; implicit-def: $vgpr7_vgpr8
	s_and_saveexec_b32 s3, vcc_lo
	s_xor_b32 s42, exec_lo, s3
	s_cbranch_execz .LBB2_29
; %bb.28:                               ;   in Loop: Header=BB2_27 Depth=2
	s_add_u32 s14, s34, s23
	s_mov_b32 s4, s23
	s_mov_b32 s5, s23
	s_addc_u32 s15, s23, s23
	s_delay_alu instid0(SALU_CYCLE_1) | instskip(NEXT) | instid1(SALU_CYCLE_1)
	s_xor_b64 s[14:15], s[14:15], s[4:5]
	v_cvt_f32_u32_e32 v7, s14
	v_cvt_f32_u32_e32 v8, s15
	s_sub_u32 s3, 0, s14
	s_subb_u32 s43, 0, s15
	s_delay_alu instid0(VALU_DEP_1) | instskip(NEXT) | instid1(VALU_DEP_1)
	v_fmac_f32_e32 v7, 0x4f800000, v8
	v_rcp_f32_e32 v7, v7
	s_waitcnt_depctr 0xfff
	v_mul_f32_e32 v7, 0x5f7ffffc, v7
	s_delay_alu instid0(VALU_DEP_1) | instskip(NEXT) | instid1(VALU_DEP_1)
	v_mul_f32_e32 v8, 0x2f800000, v7
	v_trunc_f32_e32 v8, v8
	s_delay_alu instid0(VALU_DEP_1) | instskip(SKIP_1) | instid1(VALU_DEP_2)
	v_fmac_f32_e32 v7, 0xcf800000, v8
	v_cvt_u32_f32_e32 v8, v8
	v_cvt_u32_f32_e32 v7, v7
	s_delay_alu instid0(VALU_DEP_2) | instskip(NEXT) | instid1(VALU_DEP_2)
	v_mul_lo_u32 v9, s3, v8
	v_mul_hi_u32 v10, s3, v7
	v_mul_lo_u32 v11, s43, v7
	s_delay_alu instid0(VALU_DEP_2) | instskip(SKIP_1) | instid1(VALU_DEP_2)
	v_add_nc_u32_e32 v9, v10, v9
	v_mul_lo_u32 v10, s3, v7
	v_add_nc_u32_e32 v9, v9, v11
	s_delay_alu instid0(VALU_DEP_2) | instskip(NEXT) | instid1(VALU_DEP_2)
	v_mul_hi_u32 v11, v7, v10
	v_mul_lo_u32 v12, v7, v9
	v_mul_hi_u32 v13, v7, v9
	v_mul_hi_u32 v14, v8, v10
	v_mul_lo_u32 v10, v8, v10
	v_mul_hi_u32 v15, v8, v9
	v_mul_lo_u32 v9, v8, v9
	v_add_co_u32 v11, vcc_lo, v11, v12
	v_add_co_ci_u32_e32 v12, vcc_lo, 0, v13, vcc_lo
	s_delay_alu instid0(VALU_DEP_2) | instskip(NEXT) | instid1(VALU_DEP_2)
	v_add_co_u32 v10, vcc_lo, v11, v10
	v_add_co_ci_u32_e32 v10, vcc_lo, v12, v14, vcc_lo
	v_add_co_ci_u32_e32 v11, vcc_lo, 0, v15, vcc_lo
	v_ashrrev_i32_e64 v14, 31, 0
	s_delay_alu instid0(VALU_DEP_3) | instskip(NEXT) | instid1(VALU_DEP_3)
	v_add_co_u32 v9, vcc_lo, v10, v9
	v_add_co_ci_u32_e32 v10, vcc_lo, 0, v11, vcc_lo
	s_delay_alu instid0(VALU_DEP_2) | instskip(NEXT) | instid1(VALU_DEP_2)
	v_add_co_u32 v7, vcc_lo, v7, v9
	v_add_co_ci_u32_e32 v8, vcc_lo, v8, v10, vcc_lo
	s_delay_alu instid0(VALU_DEP_2) | instskip(SKIP_1) | instid1(VALU_DEP_3)
	v_mul_hi_u32 v9, s3, v7
	v_mul_lo_u32 v11, s43, v7
	v_mul_lo_u32 v10, s3, v8
	s_delay_alu instid0(VALU_DEP_1) | instskip(SKIP_1) | instid1(VALU_DEP_2)
	v_add_nc_u32_e32 v9, v9, v10
	v_mul_lo_u32 v10, s3, v7
	v_add_nc_u32_e32 v9, v9, v11
	s_delay_alu instid0(VALU_DEP_2) | instskip(NEXT) | instid1(VALU_DEP_2)
	v_mul_hi_u32 v11, v7, v10
	v_mul_lo_u32 v12, v7, v9
	v_mul_hi_u32 v13, v7, v9
	v_mul_hi_u32 v15, v8, v10
	v_mul_lo_u32 v10, v8, v10
	v_mul_hi_u32 v25, v8, v9
	v_mul_lo_u32 v9, v8, v9
	v_add_co_u32 v11, vcc_lo, v11, v12
	v_add_co_ci_u32_e32 v12, vcc_lo, 0, v13, vcc_lo
	s_delay_alu instid0(VALU_DEP_2) | instskip(NEXT) | instid1(VALU_DEP_2)
	v_add_co_u32 v10, vcc_lo, v11, v10
	v_add_co_ci_u32_e32 v10, vcc_lo, v12, v15, vcc_lo
	v_add_co_ci_u32_e32 v11, vcc_lo, 0, v25, vcc_lo
	v_add_co_u32 v12, vcc_lo, v2, v14
	v_add_co_ci_u32_e32 v13, vcc_lo, 0, v14, vcc_lo
	s_delay_alu instid0(VALU_DEP_4) | instskip(NEXT) | instid1(VALU_DEP_4)
	v_add_co_u32 v9, vcc_lo, v10, v9
	v_add_co_ci_u32_e32 v10, vcc_lo, 0, v11, vcc_lo
	s_delay_alu instid0(VALU_DEP_4) | instskip(NEXT) | instid1(VALU_DEP_3)
	v_xor_b32_e32 v15, v12, v14
	v_add_co_u32 v11, vcc_lo, v7, v9
	s_delay_alu instid0(VALU_DEP_3) | instskip(SKIP_1) | instid1(VALU_DEP_3)
	v_add_co_ci_u32_e32 v25, vcc_lo, v8, v10, vcc_lo
	v_xor_b32_e32 v13, v13, v14
	v_mul_hi_u32 v26, v15, v11
	s_delay_alu instid0(VALU_DEP_3) | instskip(NEXT) | instid1(VALU_DEP_3)
	v_mad_u64_u32 v[7:8], null, v15, v25, 0
	v_mad_u64_u32 v[9:10], null, v13, v11, 0
	;; [unrolled: 1-line block ×3, first 2 shown]
	s_delay_alu instid0(VALU_DEP_3) | instskip(NEXT) | instid1(VALU_DEP_4)
	v_add_co_u32 v7, vcc_lo, v26, v7
	v_add_co_ci_u32_e32 v8, vcc_lo, 0, v8, vcc_lo
	s_delay_alu instid0(VALU_DEP_2) | instskip(NEXT) | instid1(VALU_DEP_2)
	v_add_co_u32 v7, vcc_lo, v7, v9
	v_add_co_ci_u32_e32 v7, vcc_lo, v8, v10, vcc_lo
	v_add_co_ci_u32_e32 v8, vcc_lo, 0, v12, vcc_lo
	s_delay_alu instid0(VALU_DEP_2) | instskip(NEXT) | instid1(VALU_DEP_2)
	v_add_co_u32 v9, vcc_lo, v7, v11
	v_add_co_ci_u32_e32 v10, vcc_lo, 0, v8, vcc_lo
	s_delay_alu instid0(VALU_DEP_2) | instskip(SKIP_1) | instid1(VALU_DEP_3)
	v_mul_lo_u32 v11, s15, v9
	v_mad_u64_u32 v[7:8], null, s14, v9, 0
	v_mul_lo_u32 v12, s14, v10
	s_delay_alu instid0(VALU_DEP_2) | instskip(NEXT) | instid1(VALU_DEP_2)
	v_sub_co_u32 v7, vcc_lo, v15, v7
	v_add3_u32 v8, v8, v12, v11
	s_delay_alu instid0(VALU_DEP_1) | instskip(NEXT) | instid1(VALU_DEP_1)
	v_sub_nc_u32_e32 v11, v13, v8
	v_subrev_co_ci_u32_e64 v11, s3, s15, v11, vcc_lo
	v_add_co_u32 v12, s3, v9, 2
	s_delay_alu instid0(VALU_DEP_1) | instskip(SKIP_3) | instid1(VALU_DEP_3)
	v_add_co_ci_u32_e64 v15, s3, 0, v10, s3
	v_sub_co_u32 v25, s3, v7, s14
	v_sub_co_ci_u32_e32 v8, vcc_lo, v13, v8, vcc_lo
	v_subrev_co_ci_u32_e64 v11, s3, 0, v11, s3
	v_cmp_le_u32_e32 vcc_lo, s14, v25
	s_delay_alu instid0(VALU_DEP_3) | instskip(SKIP_1) | instid1(VALU_DEP_4)
	v_cmp_eq_u32_e64 s3, s15, v8
	v_cndmask_b32_e64 v13, 0, -1, vcc_lo
	v_cmp_le_u32_e32 vcc_lo, s15, v11
	v_cndmask_b32_e64 v25, 0, -1, vcc_lo
	v_cmp_le_u32_e32 vcc_lo, s14, v7
	;; [unrolled: 2-line block ×3, first 2 shown]
	v_cndmask_b32_e64 v26, 0, -1, vcc_lo
	v_cmp_eq_u32_e32 vcc_lo, s15, v11
	s_delay_alu instid0(VALU_DEP_2) | instskip(SKIP_3) | instid1(VALU_DEP_3)
	v_cndmask_b32_e64 v7, v26, v7, s3
	v_cndmask_b32_e32 v11, v25, v13, vcc_lo
	v_add_co_u32 v13, vcc_lo, v9, 1
	v_add_co_ci_u32_e32 v25, vcc_lo, 0, v10, vcc_lo
	v_cmp_ne_u32_e32 vcc_lo, 0, v11
	s_delay_alu instid0(VALU_DEP_2) | instskip(NEXT) | instid1(VALU_DEP_4)
	v_cndmask_b32_e32 v8, v25, v15, vcc_lo
	v_cndmask_b32_e32 v11, v13, v12, vcc_lo
	v_cmp_ne_u32_e32 vcc_lo, 0, v7
	v_xor_b32_e32 v7, s4, v14
	s_delay_alu instid0(VALU_DEP_3) | instskip(SKIP_1) | instid1(VALU_DEP_2)
	v_dual_cndmask_b32 v9, v9, v11 :: v_dual_cndmask_b32 v8, v10, v8
	v_xor_b32_e32 v10, s5, v14
	v_xor_b32_e32 v9, v9, v7
	s_delay_alu instid0(VALU_DEP_2) | instskip(NEXT) | instid1(VALU_DEP_2)
	v_xor_b32_e32 v8, v8, v10
	v_sub_co_u32 v7, vcc_lo, v9, v7
	s_delay_alu instid0(VALU_DEP_2)
	v_sub_co_ci_u32_e32 v8, vcc_lo, v8, v10, vcc_lo
.LBB2_29:                               ;   in Loop: Header=BB2_27 Depth=2
	s_or_saveexec_b32 s3, s42
	v_cvt_f32_u32_e32 v14, s34
	s_xor_b32 exec_lo, exec_lo, s3
	s_cbranch_execz .LBB2_31
; %bb.30:                               ;   in Loop: Header=BB2_27 Depth=2
	s_delay_alu instid0(VALU_DEP_1) | instskip(SKIP_3) | instid1(VALU_DEP_1)
	v_rcp_iflag_f32_e32 v7, v14
	s_sub_i32 s4, 0, s34
	s_waitcnt_depctr 0xfff
	v_mul_f32_e32 v7, 0x4f7ffffe, v7
	v_cvt_u32_f32_e32 v7, v7
	s_delay_alu instid0(VALU_DEP_1) | instskip(NEXT) | instid1(VALU_DEP_1)
	v_mul_lo_u32 v8, s4, v7
	v_mul_hi_u32 v8, v7, v8
	s_delay_alu instid0(VALU_DEP_1) | instskip(NEXT) | instid1(VALU_DEP_1)
	v_add_nc_u32_e32 v7, v7, v8
	v_mul_hi_u32 v7, v2, v7
	s_delay_alu instid0(VALU_DEP_1) | instskip(SKIP_1) | instid1(VALU_DEP_2)
	v_mul_lo_u32 v8, v7, s34
	v_add_nc_u32_e32 v9, 1, v7
	v_sub_nc_u32_e32 v8, v2, v8
	s_delay_alu instid0(VALU_DEP_1) | instskip(SKIP_1) | instid1(VALU_DEP_2)
	v_subrev_nc_u32_e32 v10, s34, v8
	v_cmp_le_u32_e32 vcc_lo, s34, v8
	v_dual_cndmask_b32 v8, v8, v10 :: v_dual_cndmask_b32 v7, v7, v9
	s_delay_alu instid0(VALU_DEP_1) | instskip(NEXT) | instid1(VALU_DEP_2)
	v_cmp_le_u32_e32 vcc_lo, s34, v8
	v_dual_mov_b32 v8, v3 :: v_dual_add_nc_u32 v9, 1, v7
	s_delay_alu instid0(VALU_DEP_1)
	v_cndmask_b32_e32 v7, v7, v9, vcc_lo
.LBB2_31:                               ;   in Loop: Header=BB2_27 Depth=2
	s_or_b32 exec_lo, exec_lo, s3
	s_delay_alu instid0(VALU_DEP_2) | instskip(NEXT) | instid1(VALU_DEP_2)
	v_mul_lo_u32 v10, v8, s34
	v_mul_lo_u32 v11, v7, s23
	v_mad_u64_u32 v[8:9], null, v7, s34, 0
	s_delay_alu instid0(VALU_DEP_1) | instskip(NEXT) | instid1(VALU_DEP_2)
	v_add3_u32 v9, v9, v11, v10
	v_sub_co_u32 v8, vcc_lo, v2, v8
	s_delay_alu instid0(VALU_DEP_2) | instskip(NEXT) | instid1(VALU_DEP_2)
	v_sub_co_ci_u32_e32 v9, vcc_lo, 0, v9, vcc_lo
	v_mul_lo_u32 v12, v8, s26
	v_mad_u64_u32 v[10:11], null, v8, s18, 0
	s_delay_alu instid0(VALU_DEP_3) | instskip(NEXT) | instid1(VALU_DEP_1)
	v_mul_lo_u32 v8, v9, s18
	v_add3_u32 v11, v11, v12, v8
	v_mov_b32_e32 v8, v3
	s_delay_alu instid0(VALU_DEP_2) | instskip(NEXT) | instid1(VALU_DEP_1)
	v_or_b32_e32 v9, s23, v11
	v_cmp_ne_u64_e32 vcc_lo, 0, v[8:9]
                                        ; implicit-def: $vgpr8_vgpr9
	s_and_saveexec_b32 s3, vcc_lo
	s_delay_alu instid0(SALU_CYCLE_1)
	s_xor_b32 s42, exec_lo, s3
	s_cbranch_execz .LBB2_33
; %bb.32:                               ;   in Loop: Header=BB2_27 Depth=2
	s_add_u32 s14, s34, s23
	s_mov_b32 s4, s23
	s_mov_b32 s5, s23
	s_addc_u32 s15, s23, s23
	s_delay_alu instid0(SALU_CYCLE_1) | instskip(NEXT) | instid1(SALU_CYCLE_1)
	s_xor_b64 s[14:15], s[14:15], s[4:5]
	v_cvt_f32_u32_e32 v8, s14
	v_cvt_f32_u32_e32 v9, s15
	s_sub_u32 s3, 0, s14
	s_subb_u32 s43, 0, s15
	s_delay_alu instid0(VALU_DEP_1) | instskip(NEXT) | instid1(VALU_DEP_1)
	v_fmac_f32_e32 v8, 0x4f800000, v9
	v_rcp_f32_e32 v8, v8
	s_waitcnt_depctr 0xfff
	v_mul_f32_e32 v8, 0x5f7ffffc, v8
	s_delay_alu instid0(VALU_DEP_1) | instskip(NEXT) | instid1(VALU_DEP_1)
	v_mul_f32_e32 v9, 0x2f800000, v8
	v_trunc_f32_e32 v9, v9
	s_delay_alu instid0(VALU_DEP_1) | instskip(SKIP_1) | instid1(VALU_DEP_2)
	v_fmac_f32_e32 v8, 0xcf800000, v9
	v_cvt_u32_f32_e32 v9, v9
	v_cvt_u32_f32_e32 v8, v8
	s_delay_alu instid0(VALU_DEP_2) | instskip(NEXT) | instid1(VALU_DEP_2)
	v_mul_lo_u32 v12, s3, v9
	v_mul_hi_u32 v13, s3, v8
	v_mul_lo_u32 v15, s43, v8
	s_delay_alu instid0(VALU_DEP_2) | instskip(SKIP_1) | instid1(VALU_DEP_2)
	v_add_nc_u32_e32 v12, v13, v12
	v_mul_lo_u32 v13, s3, v8
	v_add_nc_u32_e32 v12, v12, v15
	s_delay_alu instid0(VALU_DEP_2) | instskip(NEXT) | instid1(VALU_DEP_2)
	v_mul_hi_u32 v15, v8, v13
	v_mul_lo_u32 v25, v8, v12
	v_mul_hi_u32 v26, v8, v12
	v_mul_hi_u32 v27, v9, v13
	v_mul_lo_u32 v13, v9, v13
	v_mul_hi_u32 v28, v9, v12
	v_mul_lo_u32 v12, v9, v12
	v_add_co_u32 v15, vcc_lo, v15, v25
	v_add_co_ci_u32_e32 v25, vcc_lo, 0, v26, vcc_lo
	s_delay_alu instid0(VALU_DEP_2) | instskip(NEXT) | instid1(VALU_DEP_2)
	v_add_co_u32 v13, vcc_lo, v15, v13
	v_add_co_ci_u32_e32 v13, vcc_lo, v25, v27, vcc_lo
	v_add_co_ci_u32_e32 v15, vcc_lo, 0, v28, vcc_lo
	v_ashrrev_i32_e32 v27, 31, v11
	s_delay_alu instid0(VALU_DEP_3) | instskip(NEXT) | instid1(VALU_DEP_3)
	v_add_co_u32 v12, vcc_lo, v13, v12
	v_add_co_ci_u32_e32 v13, vcc_lo, 0, v15, vcc_lo
	s_delay_alu instid0(VALU_DEP_2) | instskip(NEXT) | instid1(VALU_DEP_2)
	v_add_co_u32 v8, vcc_lo, v8, v12
	v_add_co_ci_u32_e32 v9, vcc_lo, v9, v13, vcc_lo
	s_delay_alu instid0(VALU_DEP_2) | instskip(SKIP_1) | instid1(VALU_DEP_3)
	v_mul_hi_u32 v12, s3, v8
	v_mul_lo_u32 v15, s43, v8
	v_mul_lo_u32 v13, s3, v9
	s_delay_alu instid0(VALU_DEP_1) | instskip(SKIP_1) | instid1(VALU_DEP_2)
	v_add_nc_u32_e32 v12, v12, v13
	v_mul_lo_u32 v13, s3, v8
	v_add_nc_u32_e32 v12, v12, v15
	s_delay_alu instid0(VALU_DEP_2) | instskip(NEXT) | instid1(VALU_DEP_2)
	v_mul_hi_u32 v15, v8, v13
	v_mul_lo_u32 v25, v8, v12
	v_mul_hi_u32 v26, v8, v12
	v_mul_hi_u32 v28, v9, v13
	v_mul_lo_u32 v13, v9, v13
	v_mul_hi_u32 v29, v9, v12
	v_mul_lo_u32 v12, v9, v12
	v_add_co_u32 v15, vcc_lo, v15, v25
	v_add_co_ci_u32_e32 v25, vcc_lo, 0, v26, vcc_lo
	s_delay_alu instid0(VALU_DEP_2) | instskip(NEXT) | instid1(VALU_DEP_2)
	v_add_co_u32 v13, vcc_lo, v15, v13
	v_add_co_ci_u32_e32 v13, vcc_lo, v25, v28, vcc_lo
	v_add_co_ci_u32_e32 v15, vcc_lo, 0, v29, vcc_lo
	v_add_co_u32 v10, vcc_lo, v10, v27
	v_add_co_ci_u32_e32 v11, vcc_lo, v11, v27, vcc_lo
	s_delay_alu instid0(VALU_DEP_4) | instskip(NEXT) | instid1(VALU_DEP_4)
	v_add_co_u32 v12, vcc_lo, v13, v12
	v_add_co_ci_u32_e32 v13, vcc_lo, 0, v15, vcc_lo
	s_delay_alu instid0(VALU_DEP_4) | instskip(NEXT) | instid1(VALU_DEP_3)
	v_xor_b32_e32 v15, v10, v27
	v_add_co_u32 v12, vcc_lo, v8, v12
	s_delay_alu instid0(VALU_DEP_3) | instskip(SKIP_1) | instid1(VALU_DEP_3)
	v_add_co_ci_u32_e32 v25, vcc_lo, v9, v13, vcc_lo
	v_xor_b32_e32 v26, v11, v27
	v_mul_hi_u32 v28, v15, v12
	s_delay_alu instid0(VALU_DEP_3) | instskip(NEXT) | instid1(VALU_DEP_3)
	v_mad_u64_u32 v[8:9], null, v15, v25, 0
	v_mad_u64_u32 v[10:11], null, v26, v12, 0
	;; [unrolled: 1-line block ×3, first 2 shown]
	s_delay_alu instid0(VALU_DEP_3) | instskip(NEXT) | instid1(VALU_DEP_4)
	v_add_co_u32 v8, vcc_lo, v28, v8
	v_add_co_ci_u32_e32 v9, vcc_lo, 0, v9, vcc_lo
	s_delay_alu instid0(VALU_DEP_2) | instskip(NEXT) | instid1(VALU_DEP_2)
	v_add_co_u32 v8, vcc_lo, v8, v10
	v_add_co_ci_u32_e32 v8, vcc_lo, v9, v11, vcc_lo
	v_add_co_ci_u32_e32 v9, vcc_lo, 0, v13, vcc_lo
	s_delay_alu instid0(VALU_DEP_2) | instskip(NEXT) | instid1(VALU_DEP_2)
	v_add_co_u32 v10, vcc_lo, v8, v12
	v_add_co_ci_u32_e32 v11, vcc_lo, 0, v9, vcc_lo
	s_delay_alu instid0(VALU_DEP_2) | instskip(SKIP_1) | instid1(VALU_DEP_3)
	v_mul_lo_u32 v12, s15, v10
	v_mad_u64_u32 v[8:9], null, s14, v10, 0
	v_mul_lo_u32 v13, s14, v11
	s_delay_alu instid0(VALU_DEP_2) | instskip(NEXT) | instid1(VALU_DEP_2)
	v_sub_co_u32 v8, vcc_lo, v15, v8
	v_add3_u32 v9, v9, v13, v12
	s_delay_alu instid0(VALU_DEP_1) | instskip(NEXT) | instid1(VALU_DEP_1)
	v_sub_nc_u32_e32 v12, v26, v9
	v_subrev_co_ci_u32_e64 v12, s3, s15, v12, vcc_lo
	v_add_co_u32 v13, s3, v10, 2
	s_delay_alu instid0(VALU_DEP_1) | instskip(SKIP_3) | instid1(VALU_DEP_3)
	v_add_co_ci_u32_e64 v15, s3, 0, v11, s3
	v_sub_co_u32 v25, s3, v8, s14
	v_sub_co_ci_u32_e32 v9, vcc_lo, v26, v9, vcc_lo
	v_subrev_co_ci_u32_e64 v12, s3, 0, v12, s3
	v_cmp_le_u32_e32 vcc_lo, s14, v25
	s_delay_alu instid0(VALU_DEP_3) | instskip(SKIP_1) | instid1(VALU_DEP_4)
	v_cmp_eq_u32_e64 s3, s15, v9
	v_cndmask_b32_e64 v25, 0, -1, vcc_lo
	v_cmp_le_u32_e32 vcc_lo, s15, v12
	v_cndmask_b32_e64 v26, 0, -1, vcc_lo
	v_cmp_le_u32_e32 vcc_lo, s14, v8
	v_cndmask_b32_e64 v8, 0, -1, vcc_lo
	v_cmp_le_u32_e32 vcc_lo, s15, v9
	v_cndmask_b32_e64 v28, 0, -1, vcc_lo
	v_cmp_eq_u32_e32 vcc_lo, s15, v12
	s_delay_alu instid0(VALU_DEP_2) | instskip(SKIP_3) | instid1(VALU_DEP_3)
	v_cndmask_b32_e64 v8, v28, v8, s3
	v_cndmask_b32_e32 v12, v26, v25, vcc_lo
	v_add_co_u32 v25, vcc_lo, v10, 1
	v_add_co_ci_u32_e32 v26, vcc_lo, 0, v11, vcc_lo
	v_cmp_ne_u32_e32 vcc_lo, 0, v12
	s_delay_alu instid0(VALU_DEP_2) | instskip(SKIP_2) | instid1(VALU_DEP_3)
	v_dual_cndmask_b32 v9, v26, v15 :: v_dual_cndmask_b32 v12, v25, v13
	v_cmp_ne_u32_e32 vcc_lo, 0, v8
	v_xor_b32_e32 v8, s4, v27
	v_dual_cndmask_b32 v10, v10, v12 :: v_dual_cndmask_b32 v9, v11, v9
	v_xor_b32_e32 v11, s5, v27
	s_delay_alu instid0(VALU_DEP_2) | instskip(NEXT) | instid1(VALU_DEP_2)
	v_xor_b32_e32 v10, v10, v8
	v_xor_b32_e32 v9, v9, v11
	s_delay_alu instid0(VALU_DEP_2) | instskip(NEXT) | instid1(VALU_DEP_2)
	v_sub_co_u32 v8, vcc_lo, v10, v8
	v_sub_co_ci_u32_e32 v9, vcc_lo, v9, v11, vcc_lo
                                        ; implicit-def: $vgpr10_vgpr11
.LBB2_33:                               ;   in Loop: Header=BB2_27 Depth=2
	s_and_not1_saveexec_b32 s3, s42
	s_cbranch_execz .LBB2_35
; %bb.34:                               ;   in Loop: Header=BB2_27 Depth=2
	v_rcp_iflag_f32_e32 v8, v14
	s_sub_i32 s4, 0, s34
	s_waitcnt_depctr 0xfff
	v_mul_f32_e32 v8, 0x4f7ffffe, v8
	s_delay_alu instid0(VALU_DEP_1) | instskip(NEXT) | instid1(VALU_DEP_1)
	v_cvt_u32_f32_e32 v8, v8
	v_mul_lo_u32 v9, s4, v8
	s_delay_alu instid0(VALU_DEP_1) | instskip(NEXT) | instid1(VALU_DEP_1)
	v_mul_hi_u32 v9, v8, v9
	v_add_nc_u32_e32 v8, v8, v9
	s_delay_alu instid0(VALU_DEP_1) | instskip(NEXT) | instid1(VALU_DEP_1)
	v_mul_hi_u32 v8, v10, v8
	v_mul_lo_u32 v9, v8, s34
	s_delay_alu instid0(VALU_DEP_1) | instskip(SKIP_1) | instid1(VALU_DEP_2)
	v_sub_nc_u32_e32 v9, v10, v9
	v_add_nc_u32_e32 v10, 1, v8
	v_subrev_nc_u32_e32 v11, s34, v9
	v_cmp_le_u32_e32 vcc_lo, s34, v9
	s_delay_alu instid0(VALU_DEP_2) | instskip(NEXT) | instid1(VALU_DEP_1)
	v_dual_cndmask_b32 v9, v9, v11 :: v_dual_cndmask_b32 v8, v8, v10
	v_cmp_le_u32_e32 vcc_lo, s34, v9
	s_delay_alu instid0(VALU_DEP_2) | instskip(NEXT) | instid1(VALU_DEP_1)
	v_dual_mov_b32 v9, v3 :: v_dual_add_nc_u32 v10, 1, v8
	v_cndmask_b32_e32 v8, v8, v10, vcc_lo
.LBB2_35:                               ;   in Loop: Header=BB2_27 Depth=2
	s_or_b32 exec_lo, exec_lo, s3
	v_add_co_u32 v12, s3, v2, 1
	s_delay_alu instid0(VALU_DEP_1) | instskip(NEXT) | instid1(VALU_DEP_2)
	v_add_co_ci_u32_e64 v10, null, 0, 0, s3
	v_mul_lo_u32 v13, v12, s26
	s_delay_alu instid0(VALU_DEP_2) | instskip(SKIP_2) | instid1(VALU_DEP_2)
	v_mul_lo_u32 v15, v10, s18
	v_mad_u64_u32 v[10:11], null, v12, s18, -1
	v_mov_b32_e32 v12, v3
	v_add3_u32 v11, v15, v11, v13
	s_delay_alu instid0(VALU_DEP_1) | instskip(NEXT) | instid1(VALU_DEP_1)
	v_or_b32_e32 v13, s23, v11
	v_cmp_ne_u64_e32 vcc_lo, 0, v[12:13]
                                        ; implicit-def: $vgpr12_vgpr13
	s_and_saveexec_b32 s3, vcc_lo
	s_delay_alu instid0(SALU_CYCLE_1)
	s_xor_b32 s42, exec_lo, s3
	s_cbranch_execz .LBB2_37
; %bb.36:                               ;   in Loop: Header=BB2_27 Depth=2
	s_add_u32 s14, s34, s23
	s_mov_b32 s4, s23
	s_mov_b32 s5, s23
	s_addc_u32 s15, s23, s23
	s_delay_alu instid0(SALU_CYCLE_1) | instskip(NEXT) | instid1(SALU_CYCLE_1)
	s_xor_b64 s[14:15], s[14:15], s[4:5]
	v_cvt_f32_u32_e32 v12, s14
	v_cvt_f32_u32_e32 v13, s15
	s_sub_u32 s3, 0, s14
	s_subb_u32 s5, 0, s15
	s_delay_alu instid0(VALU_DEP_1) | instskip(NEXT) | instid1(VALU_DEP_1)
	v_fmac_f32_e32 v12, 0x4f800000, v13
	v_rcp_f32_e32 v12, v12
	s_waitcnt_depctr 0xfff
	v_mul_f32_e32 v12, 0x5f7ffffc, v12
	s_delay_alu instid0(VALU_DEP_1) | instskip(NEXT) | instid1(VALU_DEP_1)
	v_mul_f32_e32 v13, 0x2f800000, v12
	v_trunc_f32_e32 v13, v13
	s_delay_alu instid0(VALU_DEP_1) | instskip(SKIP_1) | instid1(VALU_DEP_2)
	v_fmac_f32_e32 v12, 0xcf800000, v13
	v_cvt_u32_f32_e32 v13, v13
	v_cvt_u32_f32_e32 v12, v12
	s_delay_alu instid0(VALU_DEP_2) | instskip(NEXT) | instid1(VALU_DEP_2)
	v_mul_lo_u32 v14, s3, v13
	v_mul_hi_u32 v15, s3, v12
	v_mul_lo_u32 v25, s5, v12
	s_delay_alu instid0(VALU_DEP_2) | instskip(SKIP_1) | instid1(VALU_DEP_2)
	v_add_nc_u32_e32 v14, v15, v14
	v_mul_lo_u32 v15, s3, v12
	v_add_nc_u32_e32 v14, v14, v25
	s_delay_alu instid0(VALU_DEP_2) | instskip(NEXT) | instid1(VALU_DEP_2)
	v_mul_hi_u32 v25, v12, v15
	v_mul_lo_u32 v26, v12, v14
	v_mul_hi_u32 v27, v12, v14
	v_mul_hi_u32 v28, v13, v15
	v_mul_lo_u32 v15, v13, v15
	v_mul_hi_u32 v29, v13, v14
	v_mul_lo_u32 v14, v13, v14
	v_add_co_u32 v25, vcc_lo, v25, v26
	v_add_co_ci_u32_e32 v26, vcc_lo, 0, v27, vcc_lo
	s_delay_alu instid0(VALU_DEP_2) | instskip(NEXT) | instid1(VALU_DEP_2)
	v_add_co_u32 v15, vcc_lo, v25, v15
	v_add_co_ci_u32_e32 v15, vcc_lo, v26, v28, vcc_lo
	v_add_co_ci_u32_e32 v25, vcc_lo, 0, v29, vcc_lo
	v_ashrrev_i32_e32 v28, 31, v11
	s_delay_alu instid0(VALU_DEP_3) | instskip(NEXT) | instid1(VALU_DEP_3)
	v_add_co_u32 v14, vcc_lo, v15, v14
	v_add_co_ci_u32_e32 v15, vcc_lo, 0, v25, vcc_lo
	s_delay_alu instid0(VALU_DEP_2) | instskip(NEXT) | instid1(VALU_DEP_2)
	v_add_co_u32 v12, vcc_lo, v12, v14
	v_add_co_ci_u32_e32 v13, vcc_lo, v13, v15, vcc_lo
	s_delay_alu instid0(VALU_DEP_2) | instskip(SKIP_1) | instid1(VALU_DEP_3)
	v_mul_hi_u32 v14, s3, v12
	v_mul_lo_u32 v25, s5, v12
	v_mul_lo_u32 v15, s3, v13
	s_delay_alu instid0(VALU_DEP_1) | instskip(SKIP_1) | instid1(VALU_DEP_2)
	v_add_nc_u32_e32 v14, v14, v15
	v_mul_lo_u32 v15, s3, v12
	v_add_nc_u32_e32 v14, v14, v25
	s_delay_alu instid0(VALU_DEP_2) | instskip(NEXT) | instid1(VALU_DEP_2)
	v_mul_hi_u32 v25, v12, v15
	v_mul_lo_u32 v26, v12, v14
	v_mul_hi_u32 v27, v12, v14
	v_mul_hi_u32 v29, v13, v15
	v_mul_lo_u32 v15, v13, v15
	v_mul_hi_u32 v30, v13, v14
	v_mul_lo_u32 v14, v13, v14
	v_add_co_u32 v25, vcc_lo, v25, v26
	v_add_co_ci_u32_e32 v26, vcc_lo, 0, v27, vcc_lo
	s_delay_alu instid0(VALU_DEP_2) | instskip(NEXT) | instid1(VALU_DEP_2)
	v_add_co_u32 v15, vcc_lo, v25, v15
	v_add_co_ci_u32_e32 v15, vcc_lo, v26, v29, vcc_lo
	v_add_co_ci_u32_e32 v25, vcc_lo, 0, v30, vcc_lo
	v_add_co_u32 v10, vcc_lo, v10, v28
	v_add_co_ci_u32_e32 v11, vcc_lo, v11, v28, vcc_lo
	s_delay_alu instid0(VALU_DEP_4) | instskip(NEXT) | instid1(VALU_DEP_4)
	v_add_co_u32 v14, vcc_lo, v15, v14
	v_add_co_ci_u32_e32 v15, vcc_lo, 0, v25, vcc_lo
	s_delay_alu instid0(VALU_DEP_4) | instskip(NEXT) | instid1(VALU_DEP_3)
	v_xor_b32_e32 v25, v10, v28
	v_add_co_u32 v14, vcc_lo, v12, v14
	s_delay_alu instid0(VALU_DEP_3) | instskip(SKIP_1) | instid1(VALU_DEP_3)
	v_add_co_ci_u32_e32 v26, vcc_lo, v13, v15, vcc_lo
	v_xor_b32_e32 v27, v11, v28
	v_mul_hi_u32 v29, v25, v14
	s_delay_alu instid0(VALU_DEP_3) | instskip(NEXT) | instid1(VALU_DEP_3)
	v_mad_u64_u32 v[10:11], null, v25, v26, 0
	v_mad_u64_u32 v[12:13], null, v27, v14, 0
	;; [unrolled: 1-line block ×3, first 2 shown]
	s_delay_alu instid0(VALU_DEP_3) | instskip(NEXT) | instid1(VALU_DEP_4)
	v_add_co_u32 v10, vcc_lo, v29, v10
	v_add_co_ci_u32_e32 v11, vcc_lo, 0, v11, vcc_lo
	s_delay_alu instid0(VALU_DEP_2) | instskip(NEXT) | instid1(VALU_DEP_2)
	v_add_co_u32 v10, vcc_lo, v10, v12
	v_add_co_ci_u32_e32 v10, vcc_lo, v11, v13, vcc_lo
	v_add_co_ci_u32_e32 v11, vcc_lo, 0, v15, vcc_lo
	s_delay_alu instid0(VALU_DEP_2) | instskip(NEXT) | instid1(VALU_DEP_2)
	v_add_co_u32 v12, vcc_lo, v10, v14
	v_add_co_ci_u32_e32 v13, vcc_lo, 0, v11, vcc_lo
	s_delay_alu instid0(VALU_DEP_2) | instskip(SKIP_1) | instid1(VALU_DEP_3)
	v_mul_lo_u32 v14, s15, v12
	v_mad_u64_u32 v[10:11], null, s14, v12, 0
	v_mul_lo_u32 v13, s14, v13
	s_delay_alu instid0(VALU_DEP_2) | instskip(NEXT) | instid1(VALU_DEP_2)
	v_sub_co_u32 v10, vcc_lo, v25, v10
	v_add3_u32 v11, v11, v13, v14
	v_add_co_u32 v14, s3, v12, 2
	s_delay_alu instid0(VALU_DEP_2) | instskip(NEXT) | instid1(VALU_DEP_1)
	v_sub_nc_u32_e32 v13, v27, v11
	v_subrev_co_ci_u32_e64 v13, s3, s15, v13, vcc_lo
	v_sub_co_u32 v15, s3, v10, s14
	v_sub_co_ci_u32_e32 v11, vcc_lo, v27, v11, vcc_lo
	s_delay_alu instid0(VALU_DEP_3) | instskip(NEXT) | instid1(VALU_DEP_3)
	v_subrev_co_ci_u32_e64 v13, s3, 0, v13, s3
	v_cmp_le_u32_e32 vcc_lo, s14, v15
	v_cndmask_b32_e64 v15, 0, -1, vcc_lo
	s_delay_alu instid0(VALU_DEP_3)
	v_cmp_le_u32_e32 vcc_lo, s15, v13
	v_cndmask_b32_e64 v25, 0, -1, vcc_lo
	v_cmp_le_u32_e32 vcc_lo, s14, v10
	v_cndmask_b32_e64 v10, 0, -1, vcc_lo
	;; [unrolled: 2-line block ×3, first 2 shown]
	v_cmp_eq_u32_e32 vcc_lo, s15, v13
	v_cndmask_b32_e32 v13, v25, v15, vcc_lo
	v_add_co_u32 v15, vcc_lo, v12, 1
	v_cmp_eq_u32_e32 vcc_lo, s15, v11
	v_cndmask_b32_e32 v10, v26, v10, vcc_lo
	s_delay_alu instid0(VALU_DEP_4) | instskip(NEXT) | instid1(VALU_DEP_4)
	v_cmp_ne_u32_e32 vcc_lo, 0, v13
	v_cndmask_b32_e32 v11, v15, v14, vcc_lo
	s_delay_alu instid0(VALU_DEP_3) | instskip(NEXT) | instid1(VALU_DEP_2)
	v_cmp_ne_u32_e32 vcc_lo, 0, v10
                                        ; implicit-def: $vgpr14
	v_cndmask_b32_e32 v10, v12, v11, vcc_lo
	v_xor_b32_e32 v11, s4, v28
	s_delay_alu instid0(VALU_DEP_1) | instskip(NEXT) | instid1(VALU_DEP_1)
	v_xor_b32_e32 v10, v10, v11
	v_sub_co_u32 v12, vcc_lo, v10, v11
                                        ; implicit-def: $vgpr10_vgpr11
.LBB2_37:                               ;   in Loop: Header=BB2_27 Depth=2
	s_and_not1_saveexec_b32 s3, s42
	s_cbranch_execz .LBB2_39
; %bb.38:                               ;   in Loop: Header=BB2_27 Depth=2
	v_rcp_iflag_f32_e32 v11, v14
	s_sub_i32 s4, 0, s34
	s_waitcnt_depctr 0xfff
	v_mul_f32_e32 v11, 0x4f7ffffe, v11
	s_delay_alu instid0(VALU_DEP_1) | instskip(NEXT) | instid1(VALU_DEP_1)
	v_cvt_u32_f32_e32 v11, v11
	v_mul_lo_u32 v12, s4, v11
	s_delay_alu instid0(VALU_DEP_1) | instskip(NEXT) | instid1(VALU_DEP_1)
	v_mul_hi_u32 v12, v11, v12
	v_add_nc_u32_e32 v11, v11, v12
	s_delay_alu instid0(VALU_DEP_1) | instskip(NEXT) | instid1(VALU_DEP_1)
	v_mul_hi_u32 v11, v10, v11
	v_mul_lo_u32 v12, v11, s34
	s_delay_alu instid0(VALU_DEP_1) | instskip(SKIP_1) | instid1(VALU_DEP_2)
	v_sub_nc_u32_e32 v10, v10, v12
	v_add_nc_u32_e32 v12, 1, v11
	v_subrev_nc_u32_e32 v13, s34, v10
	v_cmp_le_u32_e32 vcc_lo, s34, v10
	s_delay_alu instid0(VALU_DEP_2) | instskip(NEXT) | instid1(VALU_DEP_1)
	v_dual_cndmask_b32 v10, v10, v13 :: v_dual_cndmask_b32 v11, v11, v12
	v_cmp_le_u32_e32 vcc_lo, s34, v10
	s_delay_alu instid0(VALU_DEP_2) | instskip(NEXT) | instid1(VALU_DEP_1)
	v_add_nc_u32_e32 v12, 1, v11
	v_cndmask_b32_e32 v12, v11, v12, vcc_lo
.LBB2_39:                               ;   in Loop: Header=BB2_27 Depth=2
	s_or_b32 exec_lo, exec_lo, s3
	v_mad_u64_u32 v[13:14], null, v7, s18, v[8:9]
	v_mov_b32_e32 v25, 0xfffffc00
	s_and_not1_b32 vcc_lo, exec_lo, s1
	s_delay_alu instid0(VALU_DEP_2) | instskip(NEXT) | instid1(VALU_DEP_1)
	v_add_nc_u32_e32 v9, v24, v13
	v_ashrrev_i32_e32 v10, 31, v9
	s_cbranch_vccnz .LBB2_26
; %bb.40:                               ;   in Loop: Header=BB2_27 Depth=2
	v_ashrrev_i32_e32 v14, 31, v13
	v_sub_nc_u32_e32 v15, v12, v13
	v_mad_u64_u32 v[11:12], null, s10, v13, v[4:5]
	v_mul_lo_u32 v25, s11, v13
	s_delay_alu instid0(VALU_DEP_4) | instskip(SKIP_3) | instid1(VALU_DEP_2)
	v_mul_lo_u32 v27, s10, v14
	v_add_nc_u32_e32 v7, v6, v7
	v_add_nc_u32_e32 v26, 1, v15
	s_mov_b32 s14, 0
	v_mad_u64_u32 v[13:14], null, s18, v7, v[8:9]
	s_delay_alu instid0(VALU_DEP_4)
	v_add3_u32 v12, v25, v12, v27
	v_mov_b32_e32 v25, 0xfffffc00
	v_cmp_lt_i32_e64 s3, 0, v26
	s_branch .LBB2_43
.LBB2_41:                               ;   in Loop: Header=BB2_43 Depth=3
	s_set_inst_prefetch_distance 0x2
	s_or_b32 exec_lo, exec_lo, s42
.LBB2_42:                               ;   in Loop: Header=BB2_43 Depth=3
	s_delay_alu instid0(SALU_CYCLE_1)
	s_or_b32 exec_lo, exec_lo, s15
	s_add_i32 s14, s14, 1
	v_add_co_u32 v11, s4, v11, s6
	v_cmp_ne_u32_e32 vcc_lo, s14, v16
	v_add_co_ci_u32_e64 v12, s4, s7, v12, s4
	v_add_nc_u32_e32 v13, s38, v13
	s_cbranch_vccz .LBB2_26
.LBB2_43:                               ;   Parent Loop BB2_12 Depth=1
                                        ;     Parent Loop BB2_27 Depth=2
                                        ; =>    This Loop Header: Depth=3
                                        ;         Child Loop BB2_46 Depth 4
                                        ;           Child Loop BB2_48 Depth 5
	s_and_saveexec_b32 s15, s2
	s_cbranch_execz .LBB2_42
; %bb.44:                               ;   in Loop: Header=BB2_43 Depth=3
	v_mov_b32_e32 v7, v11
	v_dual_mov_b32 v27, v13 :: v_dual_mov_b32 v8, v12
	s_mov_b32 s42, 0
	s_mov_b32 s43, 0
	s_set_inst_prefetch_distance 0x1
	s_branch .LBB2_46
	.p2align	6
.LBB2_45:                               ;   in Loop: Header=BB2_46 Depth=4
	s_or_b32 exec_lo, exec_lo, s44
	s_add_i32 s43, s43, 1
	v_add_co_u32 v7, s4, v7, s8
	v_cmp_ge_i32_e32 vcc_lo, s43, v19
	v_add_co_ci_u32_e64 v8, s4, s9, v8, s4
	v_add_nc_u32_e32 v27, s18, v27
	s_or_b32 s42, vcc_lo, s42
	s_delay_alu instid0(SALU_CYCLE_1)
	s_and_not1_b32 exec_lo, exec_lo, s42
	s_cbranch_execz .LBB2_41
.LBB2_46:                               ;   Parent Loop BB2_12 Depth=1
                                        ;     Parent Loop BB2_27 Depth=2
                                        ;       Parent Loop BB2_43 Depth=3
                                        ; =>      This Loop Header: Depth=4
                                        ;           Child Loop BB2_48 Depth 5
	s_and_saveexec_b32 s44, s3
	s_cbranch_execz .LBB2_45
; %bb.47:                               ;   in Loop: Header=BB2_46 Depth=4
	v_dual_mov_b32 v15, v8 :: v_dual_mov_b32 v14, v7
	s_mov_b32 s45, 0
	s_mov_b32 s46, 0
	.p2align	6
.LBB2_48:                               ;   Parent Loop BB2_12 Depth=1
                                        ;     Parent Loop BB2_27 Depth=2
                                        ;       Parent Loop BB2_43 Depth=3
                                        ;         Parent Loop BB2_46 Depth=4
                                        ; =>        This Inner Loop Header: Depth=5
	global_load_u16 v28, v[14:15], off
	v_add_co_u32 v14, vcc_lo, v14, s10
	v_add_co_ci_u32_e32 v15, vcc_lo, s11, v15, vcc_lo
	s_waitcnt vmcnt(0)
	v_cmp_gt_f16_e32 vcc_lo, v28, v25
	v_cmp_u_f16_e64 s4, v28, v28
	s_delay_alu instid0(VALU_DEP_1) | instskip(SKIP_4) | instid1(VALU_DEP_3)
	s_or_b32 vcc_lo, vcc_lo, s4
	v_add_nc_u32_e32 v29, s46, v27
	s_add_i32 s46, s46, 1
	v_cndmask_b32_e32 v25, v25, v28, vcc_lo
	v_cmp_ge_i32_e64 s5, s46, v26
	v_ashrrev_i32_e32 v30, 31, v29
	s_delay_alu instid0(VALU_DEP_2) | instskip(NEXT) | instid1(VALU_DEP_1)
	s_or_b32 s45, s5, s45
	v_dual_cndmask_b32 v10, v10, v30 :: v_dual_cndmask_b32 v9, v9, v29
	s_and_not1_b32 exec_lo, exec_lo, s45
	s_cbranch_execnz .LBB2_48
; %bb.49:                               ;   in Loop: Header=BB2_46 Depth=4
	s_or_b32 exec_lo, exec_lo, s45
	s_branch .LBB2_45
.LBB2_50:
	s_nop 0
	s_sendmsg sendmsg(MSG_DEALLOC_VGPRS)
	s_endpgm
.LBB2_51:
                                        ; implicit-def: $sgpr26_sgpr27
	s_branch .LBB2_2
.LBB2_52:
                                        ; implicit-def: $sgpr22_sgpr23
	s_load_b32 s33, s[0:1], 0x64
	s_branch .LBB2_5
.LBB2_53:
                                        ; implicit-def: $vgpr2_vgpr3
	s_load_b32 s2, s[0:1], 0x5c
	s_branch .LBB2_9
	.section	.rodata,"a",@progbits
	.p2align	6, 0x0
	.amdhsa_kernel _ZN2at6native12_GLOBAL__N_115adaptivemaxpoolIN3c104HalfEEEvPKT_PS5_Pliiiiiilllll
		.amdhsa_group_segment_fixed_size 0
		.amdhsa_private_segment_fixed_size 0
		.amdhsa_kernarg_size 344
		.amdhsa_user_sgpr_count 14
		.amdhsa_user_sgpr_dispatch_ptr 0
		.amdhsa_user_sgpr_queue_ptr 0
		.amdhsa_user_sgpr_kernarg_segment_ptr 1
		.amdhsa_user_sgpr_dispatch_id 0
		.amdhsa_user_sgpr_private_segment_size 0
		.amdhsa_wavefront_size32 1
		.amdhsa_uses_dynamic_stack 0
		.amdhsa_enable_private_segment 0
		.amdhsa_system_sgpr_workgroup_id_x 1
		.amdhsa_system_sgpr_workgroup_id_y 1
		.amdhsa_system_sgpr_workgroup_id_z 0
		.amdhsa_system_sgpr_workgroup_info 0
		.amdhsa_system_vgpr_workitem_id 1
		.amdhsa_next_free_vgpr 31
		.amdhsa_next_free_sgpr 47
		.amdhsa_reserve_vcc 1
		.amdhsa_float_round_mode_32 0
		.amdhsa_float_round_mode_16_64 0
		.amdhsa_float_denorm_mode_32 3
		.amdhsa_float_denorm_mode_16_64 3
		.amdhsa_dx10_clamp 1
		.amdhsa_ieee_mode 1
		.amdhsa_fp16_overflow 0
		.amdhsa_workgroup_processor_mode 1
		.amdhsa_memory_ordered 1
		.amdhsa_forward_progress 0
		.amdhsa_shared_vgpr_count 0
		.amdhsa_exception_fp_ieee_invalid_op 0
		.amdhsa_exception_fp_denorm_src 0
		.amdhsa_exception_fp_ieee_div_zero 0
		.amdhsa_exception_fp_ieee_overflow 0
		.amdhsa_exception_fp_ieee_underflow 0
		.amdhsa_exception_fp_ieee_inexact 0
		.amdhsa_exception_int_div_zero 0
	.end_amdhsa_kernel
	.section	.text._ZN2at6native12_GLOBAL__N_115adaptivemaxpoolIN3c104HalfEEEvPKT_PS5_Pliiiiiilllll,"axG",@progbits,_ZN2at6native12_GLOBAL__N_115adaptivemaxpoolIN3c104HalfEEEvPKT_PS5_Pliiiiiilllll,comdat
.Lfunc_end2:
	.size	_ZN2at6native12_GLOBAL__N_115adaptivemaxpoolIN3c104HalfEEEvPKT_PS5_Pliiiiiilllll, .Lfunc_end2-_ZN2at6native12_GLOBAL__N_115adaptivemaxpoolIN3c104HalfEEEvPKT_PS5_Pliiiiiilllll
                                        ; -- End function
	.section	.AMDGPU.csdata,"",@progbits
; Kernel info:
; codeLenInByte = 8896
; NumSgprs: 49
; NumVgprs: 31
; ScratchSize: 0
; MemoryBound: 0
; FloatMode: 240
; IeeeMode: 1
; LDSByteSize: 0 bytes/workgroup (compile time only)
; SGPRBlocks: 6
; VGPRBlocks: 3
; NumSGPRsForWavesPerEU: 49
; NumVGPRsForWavesPerEU: 31
; Occupancy: 16
; WaveLimiterHint : 0
; COMPUTE_PGM_RSRC2:SCRATCH_EN: 0
; COMPUTE_PGM_RSRC2:USER_SGPR: 14
; COMPUTE_PGM_RSRC2:TRAP_HANDLER: 0
; COMPUTE_PGM_RSRC2:TGID_X_EN: 1
; COMPUTE_PGM_RSRC2:TGID_Y_EN: 1
; COMPUTE_PGM_RSRC2:TGID_Z_EN: 0
; COMPUTE_PGM_RSRC2:TIDIG_COMP_CNT: 1
	.section	.text._ZN2at6native12_GLOBAL__N_115adaptivemaxpoolIN3c108BFloat16EEEvPKT_PS5_Pliiiiiilllll,"axG",@progbits,_ZN2at6native12_GLOBAL__N_115adaptivemaxpoolIN3c108BFloat16EEEvPKT_PS5_Pliiiiiilllll,comdat
	.globl	_ZN2at6native12_GLOBAL__N_115adaptivemaxpoolIN3c108BFloat16EEEvPKT_PS5_Pliiiiiilllll ; -- Begin function _ZN2at6native12_GLOBAL__N_115adaptivemaxpoolIN3c108BFloat16EEEvPKT_PS5_Pliiiiiilllll
	.p2align	8
	.type	_ZN2at6native12_GLOBAL__N_115adaptivemaxpoolIN3c108BFloat16EEEvPKT_PS5_Pliiiiiilllll,@function
_ZN2at6native12_GLOBAL__N_115adaptivemaxpoolIN3c108BFloat16EEEvPKT_PS5_Pliiiiiilllll: ; @_ZN2at6native12_GLOBAL__N_115adaptivemaxpoolIN3c108BFloat16EEEvPKT_PS5_Pliiiiiilllll
; %bb.0:
	s_clause 0x2
	s_load_b64 s[2:3], s[0:1], 0x50
	s_load_b128 s[16:19], s[0:1], 0x18
	s_load_b64 s[20:21], s[0:1], 0x28
	s_waitcnt lgkmcnt(0)
	s_add_u32 s24, s14, s2
	s_addc_u32 s25, 0, s3
	s_ashr_i32 s13, s19, 31
	s_mov_b32 s12, s19
	s_delay_alu instid0(SALU_CYCLE_1) | instskip(SKIP_1) | instid1(SALU_CYCLE_1)
	s_or_b64 s[2:3], s[24:25], s[12:13]
	s_mov_b32 s2, 0
	s_cmp_lg_u64 s[2:3], 0
	s_cbranch_scc0 .LBB3_51
; %bb.1:
	s_add_u32 s6, s12, s13
	s_mov_b32 s4, s13
	s_mov_b32 s5, s13
	s_addc_u32 s7, s13, s13
	s_delay_alu instid0(SALU_CYCLE_1) | instskip(NEXT) | instid1(SALU_CYCLE_1)
	s_xor_b64 s[6:7], s[6:7], s[4:5]
	v_cvt_f32_u32_e32 v1, s6
	v_cvt_f32_u32_e32 v2, s7
	s_sub_u32 s9, 0, s6
	s_subb_u32 s10, 0, s7
	s_delay_alu instid0(VALU_DEP_1) | instskip(NEXT) | instid1(VALU_DEP_1)
	v_fmamk_f32 v1, v2, 0x4f800000, v1
	v_rcp_f32_e32 v1, v1
	s_waitcnt_depctr 0xfff
	v_mul_f32_e32 v1, 0x5f7ffffc, v1
	s_delay_alu instid0(VALU_DEP_1) | instskip(NEXT) | instid1(VALU_DEP_1)
	v_mul_f32_e32 v2, 0x2f800000, v1
	v_trunc_f32_e32 v2, v2
	s_delay_alu instid0(VALU_DEP_1) | instskip(SKIP_1) | instid1(VALU_DEP_2)
	v_fmamk_f32 v1, v2, 0xcf800000, v1
	v_cvt_u32_f32_e32 v2, v2
	v_cvt_u32_f32_e32 v1, v1
	s_delay_alu instid0(VALU_DEP_2) | instskip(NEXT) | instid1(VALU_DEP_2)
	v_readfirstlane_b32 s3, v2
	v_readfirstlane_b32 s8, v1
	s_delay_alu instid0(VALU_DEP_2) | instskip(NEXT) | instid1(VALU_DEP_1)
	s_mul_i32 s11, s9, s3
	s_mul_hi_u32 s19, s9, s8
	s_mul_i32 s14, s10, s8
	s_add_i32 s11, s19, s11
	s_mul_i32 s22, s9, s8
	s_add_i32 s11, s11, s14
	s_mul_hi_u32 s19, s8, s22
	s_mul_hi_u32 s23, s3, s22
	s_mul_i32 s14, s3, s22
	s_mul_hi_u32 s22, s8, s11
	s_mul_i32 s8, s8, s11
	s_mul_hi_u32 s26, s3, s11
	s_add_u32 s8, s19, s8
	s_addc_u32 s19, 0, s22
	s_add_u32 s8, s8, s14
	s_mul_i32 s11, s3, s11
	s_addc_u32 s8, s19, s23
	s_addc_u32 s14, s26, 0
	s_add_u32 s8, s8, s11
	s_addc_u32 s11, 0, s14
	v_add_co_u32 v1, s8, v1, s8
	s_delay_alu instid0(VALU_DEP_1) | instskip(SKIP_1) | instid1(VALU_DEP_1)
	s_cmp_lg_u32 s8, 0
	s_addc_u32 s3, s3, s11
	v_readfirstlane_b32 s8, v1
	s_mul_i32 s11, s9, s3
	s_delay_alu instid0(VALU_DEP_1)
	s_mul_hi_u32 s14, s9, s8
	s_mul_i32 s10, s10, s8
	s_add_i32 s11, s14, s11
	s_mul_i32 s9, s9, s8
	s_add_i32 s11, s11, s10
	s_mul_hi_u32 s14, s3, s9
	s_mul_i32 s19, s3, s9
	s_mul_hi_u32 s9, s8, s9
	s_mul_hi_u32 s22, s8, s11
	s_mul_i32 s8, s8, s11
	s_mul_hi_u32 s10, s3, s11
	s_add_u32 s8, s9, s8
	s_addc_u32 s9, 0, s22
	s_add_u32 s8, s8, s19
	s_mul_i32 s11, s3, s11
	s_addc_u32 s8, s9, s14
	s_addc_u32 s9, s10, 0
	s_add_u32 s8, s8, s11
	s_addc_u32 s9, 0, s9
	v_add_co_u32 v1, s8, v1, s8
	s_delay_alu instid0(VALU_DEP_1) | instskip(SKIP_2) | instid1(VALU_DEP_1)
	s_cmp_lg_u32 s8, 0
	s_addc_u32 s3, s3, s9
	s_ashr_i32 s8, s25, 31
	v_readfirstlane_b32 s14, v1
	s_add_u32 s10, s24, s8
	s_mov_b32 s9, s8
	s_addc_u32 s11, s25, s8
	s_delay_alu instid0(SALU_CYCLE_1) | instskip(NEXT) | instid1(SALU_CYCLE_1)
	s_xor_b64 s[10:11], s[10:11], s[8:9]
	s_mul_i32 s22, s10, s3
	s_mul_hi_u32 s23, s10, s14
	s_mul_hi_u32 s19, s10, s3
	;; [unrolled: 1-line block ×3, first 2 shown]
	s_mul_i32 s14, s11, s14
	s_add_u32 s22, s23, s22
	s_addc_u32 s19, 0, s19
	s_mul_hi_u32 s26, s11, s3
	s_add_u32 s14, s22, s14
	s_mul_i32 s3, s11, s3
	s_addc_u32 s14, s19, s27
	s_addc_u32 s19, s26, 0
	s_add_u32 s3, s14, s3
	s_addc_u32 s14, 0, s19
	s_mul_i32 s26, s6, s3
	s_mul_hi_u32 s19, s6, s3
	s_mul_i32 s23, s6, s14
	v_sub_co_u32 v1, s10, s10, s26
	s_mul_i32 s22, s7, s3
	s_add_i32 s19, s19, s23
	s_delay_alu instid0(SALU_CYCLE_1) | instskip(NEXT) | instid1(VALU_DEP_1)
	s_add_i32 s19, s19, s22
	v_sub_co_u32 v2, s23, v1, s6
	s_sub_i32 s22, s11, s19
	s_cmp_lg_u32 s10, 0
	s_subb_u32 s22, s22, s7
	s_cmp_lg_u32 s23, 0
	v_readfirstlane_b32 s23, v2
	s_subb_u32 s22, s22, 0
	s_delay_alu instid0(SALU_CYCLE_1) | instskip(SKIP_1) | instid1(VALU_DEP_1)
	s_cmp_ge_u32 s22, s7
	s_cselect_b32 s26, -1, 0
	s_cmp_ge_u32 s23, s6
	s_cselect_b32 s23, -1, 0
	s_cmp_eq_u32 s22, s7
	s_cselect_b32 s22, s23, s26
	s_add_u32 s23, s3, 1
	s_addc_u32 s26, s14, 0
	s_add_u32 s27, s3, 2
	s_addc_u32 s28, s14, 0
	s_cmp_lg_u32 s22, 0
	s_cselect_b32 s22, s27, s23
	s_cselect_b32 s23, s28, s26
	s_cmp_lg_u32 s10, 0
	v_readfirstlane_b32 s10, v1
	s_subb_u32 s11, s11, s19
	s_delay_alu instid0(SALU_CYCLE_1) | instskip(SKIP_1) | instid1(VALU_DEP_1)
	s_cmp_ge_u32 s11, s7
	s_cselect_b32 s19, -1, 0
	s_cmp_ge_u32 s10, s6
	s_cselect_b32 s6, -1, 0
	s_cmp_eq_u32 s11, s7
	s_cselect_b32 s6, s6, s19
	s_delay_alu instid0(SALU_CYCLE_1) | instskip(SKIP_3) | instid1(SALU_CYCLE_1)
	s_cmp_lg_u32 s6, 0
	s_cselect_b32 s7, s23, s14
	s_cselect_b32 s6, s22, s3
	s_xor_b64 s[4:5], s[8:9], s[4:5]
	s_xor_b64 s[6:7], s[6:7], s[4:5]
	s_delay_alu instid0(SALU_CYCLE_1)
	s_sub_u32 s26, s6, s4
	s_subb_u32 s27, s7, s5
	s_and_not1_b32 vcc_lo, exec_lo, s2
	s_cbranch_vccnz .LBB3_3
.LBB3_2:
	v_cvt_f32_u32_e32 v1, s12
	s_sub_i32 s3, 0, s12
	s_mov_b32 s27, 0
	s_delay_alu instid0(VALU_DEP_1) | instskip(SKIP_2) | instid1(VALU_DEP_1)
	v_rcp_iflag_f32_e32 v1, v1
	s_waitcnt_depctr 0xfff
	v_mul_f32_e32 v1, 0x4f7ffffe, v1
	v_cvt_u32_f32_e32 v1, v1
	s_delay_alu instid0(VALU_DEP_1) | instskip(NEXT) | instid1(VALU_DEP_1)
	v_readfirstlane_b32 s2, v1
	s_mul_i32 s3, s3, s2
	s_delay_alu instid0(SALU_CYCLE_1) | instskip(NEXT) | instid1(SALU_CYCLE_1)
	s_mul_hi_u32 s3, s2, s3
	s_add_i32 s2, s2, s3
	s_delay_alu instid0(SALU_CYCLE_1) | instskip(NEXT) | instid1(SALU_CYCLE_1)
	s_mul_hi_u32 s2, s24, s2
	s_mul_i32 s3, s2, s12
	s_add_i32 s4, s2, 1
	s_sub_i32 s3, s24, s3
	s_delay_alu instid0(SALU_CYCLE_1)
	s_sub_i32 s5, s3, s12
	s_cmp_ge_u32 s3, s12
	s_cselect_b32 s2, s4, s2
	s_cselect_b32 s3, s5, s3
	s_add_i32 s4, s2, 1
	s_cmp_ge_u32 s3, s12
	s_cselect_b32 s26, s4, s2
.LBB3_3:
	s_delay_alu instid0(SALU_CYCLE_1) | instskip(SKIP_4) | instid1(SALU_CYCLE_1)
	s_mul_i32 s2, s26, s13
	s_mul_hi_u32 s3, s26, s12
	s_mul_i32 s4, s26, s12
	s_add_i32 s2, s3, s2
	s_mul_i32 s3, s27, s12
	s_add_i32 s2, s2, s3
	s_sub_u32 s4, s24, s4
	s_subb_u32 s2, s25, s2
	s_ashr_i32 s14, s16, 31
	s_mul_hi_u32 s5, s4, s16
	s_mul_i32 s3, s4, s14
	s_mul_i32 s2, s2, s16
	s_add_i32 s3, s5, s3
	s_delay_alu instid0(SALU_CYCLE_1) | instskip(SKIP_1) | instid1(SALU_CYCLE_1)
	s_add_i32 s3, s3, s2
	s_mul_i32 s2, s4, s16
	s_or_b64 s[4:5], s[2:3], s[12:13]
	s_mov_b32 s4, 0
	s_delay_alu instid0(SALU_CYCLE_1)
	s_cmp_lg_u64 s[4:5], 0
	s_cbranch_scc0 .LBB3_52
; %bb.4:
	s_add_u32 s8, s12, s13
	s_mov_b32 s6, s13
	s_mov_b32 s7, s13
	s_addc_u32 s9, s13, s13
	s_delay_alu instid0(SALU_CYCLE_1) | instskip(NEXT) | instid1(SALU_CYCLE_1)
	s_xor_b64 s[8:9], s[8:9], s[6:7]
	v_cvt_f32_u32_e32 v1, s8
	v_cvt_f32_u32_e32 v2, s9
	s_sub_u32 s11, 0, s8
	s_subb_u32 s19, 0, s9
	s_delay_alu instid0(VALU_DEP_1) | instskip(NEXT) | instid1(VALU_DEP_1)
	v_fmamk_f32 v1, v2, 0x4f800000, v1
	v_rcp_f32_e32 v1, v1
	s_waitcnt_depctr 0xfff
	v_mul_f32_e32 v1, 0x5f7ffffc, v1
	s_delay_alu instid0(VALU_DEP_1) | instskip(NEXT) | instid1(VALU_DEP_1)
	v_mul_f32_e32 v2, 0x2f800000, v1
	v_trunc_f32_e32 v2, v2
	s_delay_alu instid0(VALU_DEP_1) | instskip(SKIP_1) | instid1(VALU_DEP_2)
	v_fmamk_f32 v1, v2, 0xcf800000, v1
	v_cvt_u32_f32_e32 v2, v2
	v_cvt_u32_f32_e32 v1, v1
	s_delay_alu instid0(VALU_DEP_2) | instskip(NEXT) | instid1(VALU_DEP_2)
	v_readfirstlane_b32 s5, v2
	v_readfirstlane_b32 s10, v1
	s_delay_alu instid0(VALU_DEP_2) | instskip(NEXT) | instid1(VALU_DEP_1)
	s_mul_i32 s22, s11, s5
	s_mul_hi_u32 s28, s11, s10
	s_mul_i32 s23, s19, s10
	s_add_i32 s22, s28, s22
	s_mul_i32 s29, s11, s10
	s_add_i32 s22, s22, s23
	s_mul_hi_u32 s28, s10, s29
	s_mul_hi_u32 s30, s5, s29
	s_mul_i32 s23, s5, s29
	s_mul_hi_u32 s29, s10, s22
	s_mul_i32 s10, s10, s22
	s_mul_hi_u32 s31, s5, s22
	s_add_u32 s10, s28, s10
	s_addc_u32 s28, 0, s29
	s_add_u32 s10, s10, s23
	s_mul_i32 s22, s5, s22
	s_addc_u32 s10, s28, s30
	s_addc_u32 s23, s31, 0
	s_add_u32 s10, s10, s22
	s_addc_u32 s22, 0, s23
	v_add_co_u32 v1, s10, v1, s10
	s_delay_alu instid0(VALU_DEP_1) | instskip(SKIP_1) | instid1(VALU_DEP_1)
	s_cmp_lg_u32 s10, 0
	s_addc_u32 s5, s5, s22
	v_readfirstlane_b32 s10, v1
	s_mul_i32 s22, s11, s5
	s_delay_alu instid0(VALU_DEP_1)
	s_mul_hi_u32 s23, s11, s10
	s_mul_i32 s19, s19, s10
	s_add_i32 s22, s23, s22
	s_mul_i32 s11, s11, s10
	s_add_i32 s22, s22, s19
	s_mul_hi_u32 s23, s5, s11
	s_mul_i32 s28, s5, s11
	s_mul_hi_u32 s11, s10, s11
	s_mul_hi_u32 s29, s10, s22
	s_mul_i32 s10, s10, s22
	s_mul_hi_u32 s19, s5, s22
	s_add_u32 s10, s11, s10
	s_addc_u32 s11, 0, s29
	s_add_u32 s10, s10, s28
	s_mul_i32 s22, s5, s22
	s_addc_u32 s10, s11, s23
	s_addc_u32 s11, s19, 0
	s_add_u32 s10, s10, s22
	s_addc_u32 s11, 0, s11
	v_add_co_u32 v1, s10, v1, s10
	s_delay_alu instid0(VALU_DEP_1) | instskip(SKIP_2) | instid1(VALU_DEP_1)
	s_cmp_lg_u32 s10, 0
	s_addc_u32 s5, s5, s11
	s_ashr_i32 s10, s3, 31
	v_readfirstlane_b32 s19, v1
	s_add_u32 s22, s2, s10
	s_mov_b32 s11, s10
	s_addc_u32 s23, s3, s10
	s_delay_alu instid0(SALU_CYCLE_1) | instskip(NEXT) | instid1(SALU_CYCLE_1)
	s_xor_b64 s[22:23], s[22:23], s[10:11]
	s_mul_i32 s29, s22, s5
	s_mul_hi_u32 s30, s22, s19
	s_mul_hi_u32 s28, s22, s5
	;; [unrolled: 1-line block ×3, first 2 shown]
	s_mul_i32 s19, s23, s19
	s_add_u32 s29, s30, s29
	s_addc_u32 s28, 0, s28
	s_mul_hi_u32 s31, s23, s5
	s_add_u32 s19, s29, s19
	s_mul_i32 s5, s23, s5
	s_addc_u32 s19, s28, s33
	s_addc_u32 s28, s31, 0
	s_add_u32 s5, s19, s5
	s_addc_u32 s19, 0, s28
	s_mul_i32 s31, s8, s5
	s_mul_hi_u32 s28, s8, s5
	s_mul_i32 s30, s8, s19
	v_sub_co_u32 v1, s22, s22, s31
	s_mul_i32 s29, s9, s5
	s_add_i32 s28, s28, s30
	s_delay_alu instid0(SALU_CYCLE_1) | instskip(NEXT) | instid1(VALU_DEP_1)
	s_add_i32 s28, s28, s29
	v_sub_co_u32 v2, s30, v1, s8
	s_sub_i32 s29, s23, s28
	s_cmp_lg_u32 s22, 0
	s_subb_u32 s29, s29, s9
	s_cmp_lg_u32 s30, 0
	v_readfirstlane_b32 s30, v2
	s_subb_u32 s29, s29, 0
	s_delay_alu instid0(SALU_CYCLE_1) | instskip(SKIP_1) | instid1(VALU_DEP_1)
	s_cmp_ge_u32 s29, s9
	s_cselect_b32 s31, -1, 0
	s_cmp_ge_u32 s30, s8
	s_cselect_b32 s30, -1, 0
	s_cmp_eq_u32 s29, s9
	s_cselect_b32 s29, s30, s31
	s_add_u32 s30, s5, 1
	s_addc_u32 s31, s19, 0
	s_add_u32 s33, s5, 2
	s_addc_u32 s34, s19, 0
	s_cmp_lg_u32 s29, 0
	s_cselect_b32 s29, s33, s30
	s_cselect_b32 s30, s34, s31
	s_cmp_lg_u32 s22, 0
	v_readfirstlane_b32 s22, v1
	s_subb_u32 s23, s23, s28
	s_delay_alu instid0(SALU_CYCLE_1) | instskip(SKIP_1) | instid1(VALU_DEP_1)
	s_cmp_ge_u32 s23, s9
	s_cselect_b32 s28, -1, 0
	s_cmp_ge_u32 s22, s8
	s_cselect_b32 s8, -1, 0
	s_cmp_eq_u32 s23, s9
	s_cselect_b32 s8, s8, s28
	s_delay_alu instid0(SALU_CYCLE_1) | instskip(SKIP_3) | instid1(SALU_CYCLE_1)
	s_cmp_lg_u32 s8, 0
	s_cselect_b32 s9, s30, s19
	s_cselect_b32 s8, s29, s5
	s_xor_b64 s[6:7], s[10:11], s[6:7]
	s_xor_b64 s[8:9], s[8:9], s[6:7]
	s_delay_alu instid0(SALU_CYCLE_1)
	s_sub_u32 s22, s8, s6
	s_subb_u32 s23, s9, s7
	s_load_b32 s33, s[0:1], 0x64
	s_and_not1_b32 vcc_lo, exec_lo, s4
	s_cbranch_vccnz .LBB3_6
.LBB3_5:
	v_cvt_f32_u32_e32 v1, s12
	s_sub_i32 s5, 0, s12
	s_mov_b32 s23, 0
	s_delay_alu instid0(VALU_DEP_1) | instskip(SKIP_2) | instid1(VALU_DEP_1)
	v_rcp_iflag_f32_e32 v1, v1
	s_waitcnt_depctr 0xfff
	v_mul_f32_e32 v1, 0x4f7ffffe, v1
	v_cvt_u32_f32_e32 v1, v1
	s_delay_alu instid0(VALU_DEP_1) | instskip(NEXT) | instid1(VALU_DEP_1)
	v_readfirstlane_b32 s4, v1
	s_mul_i32 s5, s5, s4
	s_delay_alu instid0(SALU_CYCLE_1) | instskip(NEXT) | instid1(SALU_CYCLE_1)
	s_mul_hi_u32 s5, s4, s5
	s_add_i32 s4, s4, s5
	s_delay_alu instid0(SALU_CYCLE_1) | instskip(NEXT) | instid1(SALU_CYCLE_1)
	s_mul_hi_u32 s4, s2, s4
	s_mul_i32 s5, s4, s12
	s_add_i32 s6, s4, 1
	s_sub_i32 s5, s2, s5
	s_delay_alu instid0(SALU_CYCLE_1)
	s_sub_i32 s7, s5, s12
	s_cmp_ge_u32 s5, s12
	s_cselect_b32 s4, s6, s4
	s_cselect_b32 s5, s7, s5
	s_add_i32 s6, s4, 1
	s_cmp_ge_u32 s5, s12
	s_cselect_b32 s22, s6, s4
.LBB3_6:
	v_bfe_u32 v3, v0, 10, 10
	s_waitcnt lgkmcnt(0)
	s_lshr_b32 s35, s33, 16
	s_mov_b32 s4, exec_lo
	s_delay_alu instid0(VALU_DEP_1) | instskip(NEXT) | instid1(VALU_DEP_1)
	v_mad_u64_u32 v[1:2], null, s15, s35, v[3:4]
	v_cmpx_gt_i32_e64 s20, v1
	s_cbranch_execz .LBB3_50
; %bb.7:
	s_load_b256 s[4:11], s[0:1], 0x30
	s_add_u32 s2, s2, s16
	s_addc_u32 s3, s3, s14
	s_add_u32 s14, s2, -1
	s_addc_u32 s15, s3, -1
	s_delay_alu instid0(SALU_CYCLE_1) | instskip(SKIP_1) | instid1(SALU_CYCLE_1)
	s_or_b64 s[28:29], s[14:15], s[12:13]
	s_mov_b32 s28, 0
	s_cmp_lg_u64 s[28:29], 0
	s_cbranch_scc0 .LBB3_53
; %bb.8:
	s_add_u32 s2, s12, s13
	s_mov_b32 s30, s13
	s_mov_b32 s31, s13
	s_addc_u32 s3, s13, s13
	s_delay_alu instid0(SALU_CYCLE_1) | instskip(NEXT) | instid1(SALU_CYCLE_1)
	s_xor_b64 s[2:3], s[2:3], s[30:31]
	v_cvt_f32_u32_e32 v2, s2
	v_cvt_f32_u32_e32 v3, s3
	s_sub_u32 s19, 0, s2
	s_subb_u32 s29, 0, s3
	s_delay_alu instid0(VALU_DEP_1) | instskip(NEXT) | instid1(VALU_DEP_1)
	v_fmamk_f32 v2, v3, 0x4f800000, v2
	v_rcp_f32_e32 v2, v2
	s_waitcnt_depctr 0xfff
	v_mul_f32_e32 v2, 0x5f7ffffc, v2
	s_delay_alu instid0(VALU_DEP_1) | instskip(NEXT) | instid1(VALU_DEP_1)
	v_mul_f32_e32 v3, 0x2f800000, v2
	v_trunc_f32_e32 v3, v3
	s_delay_alu instid0(VALU_DEP_1) | instskip(SKIP_1) | instid1(VALU_DEP_2)
	v_fmamk_f32 v2, v3, 0xcf800000, v2
	v_cvt_u32_f32_e32 v3, v3
	v_cvt_u32_f32_e32 v2, v2
	s_delay_alu instid0(VALU_DEP_2) | instskip(NEXT) | instid1(VALU_DEP_2)
	v_readfirstlane_b32 s13, v3
	v_readfirstlane_b32 s16, v2
	s_delay_alu instid0(VALU_DEP_2) | instskip(NEXT) | instid1(VALU_DEP_1)
	s_mul_i32 s34, s19, s13
	s_mul_hi_u32 s37, s19, s16
	s_mul_i32 s36, s29, s16
	s_add_i32 s34, s37, s34
	s_mul_i32 s38, s19, s16
	s_add_i32 s34, s34, s36
	s_mul_hi_u32 s37, s16, s38
	s_mul_hi_u32 s39, s13, s38
	s_mul_i32 s36, s13, s38
	s_mul_hi_u32 s38, s16, s34
	s_mul_i32 s16, s16, s34
	s_mul_hi_u32 s40, s13, s34
	s_add_u32 s16, s37, s16
	s_addc_u32 s37, 0, s38
	s_add_u32 s16, s16, s36
	s_mul_i32 s34, s13, s34
	s_addc_u32 s16, s37, s39
	s_addc_u32 s36, s40, 0
	s_add_u32 s16, s16, s34
	s_addc_u32 s34, 0, s36
	v_add_co_u32 v2, s16, v2, s16
	s_delay_alu instid0(VALU_DEP_1) | instskip(SKIP_1) | instid1(VALU_DEP_1)
	s_cmp_lg_u32 s16, 0
	s_addc_u32 s13, s13, s34
	v_readfirstlane_b32 s16, v2
	s_mul_i32 s34, s19, s13
	s_delay_alu instid0(VALU_DEP_1)
	s_mul_hi_u32 s36, s19, s16
	s_mul_i32 s29, s29, s16
	s_add_i32 s34, s36, s34
	s_mul_i32 s19, s19, s16
	s_add_i32 s34, s34, s29
	s_mul_hi_u32 s36, s13, s19
	s_mul_i32 s37, s13, s19
	s_mul_hi_u32 s19, s16, s19
	s_mul_hi_u32 s38, s16, s34
	s_mul_i32 s16, s16, s34
	s_mul_hi_u32 s29, s13, s34
	s_add_u32 s16, s19, s16
	s_addc_u32 s19, 0, s38
	s_add_u32 s16, s16, s37
	s_mul_i32 s34, s13, s34
	s_addc_u32 s16, s19, s36
	s_addc_u32 s19, s29, 0
	s_add_u32 s16, s16, s34
	s_addc_u32 s19, 0, s19
	v_add_co_u32 v2, s16, v2, s16
	s_delay_alu instid0(VALU_DEP_1) | instskip(SKIP_2) | instid1(SALU_CYCLE_1)
	s_cmp_lg_u32 s16, 0
	s_addc_u32 s13, s13, s19
	s_ashr_i32 s36, s15, 31
	s_add_u32 s38, s14, s36
	s_addc_u32 s39, s15, s36
	v_readfirstlane_b32 s15, v2
	s_mov_b32 s37, s36
	s_delay_alu instid0(SALU_CYCLE_1) | instskip(NEXT) | instid1(SALU_CYCLE_1)
	s_xor_b64 s[38:39], s[38:39], s[36:37]
	s_mul_i32 s19, s38, s13
	s_delay_alu instid0(VALU_DEP_1)
	s_mul_hi_u32 s29, s38, s15
	s_mul_hi_u32 s16, s38, s13
	;; [unrolled: 1-line block ×3, first 2 shown]
	s_mul_i32 s15, s39, s15
	s_add_u32 s19, s29, s19
	s_addc_u32 s16, 0, s16
	s_mul_hi_u32 s34, s39, s13
	s_add_u32 s15, s19, s15
	s_mul_i32 s13, s39, s13
	s_addc_u32 s15, s16, s40
	s_addc_u32 s16, s34, 0
	s_add_u32 s13, s15, s13
	s_addc_u32 s15, 0, s16
	s_mul_hi_u32 s16, s2, s13
	s_mul_i32 s15, s2, s15
	s_mul_i32 s29, s2, s13
	s_mul_i32 s19, s3, s13
	s_add_i32 s15, s16, s15
	v_sub_co_u32 v2, s16, s38, s29
	s_add_i32 s15, s15, s19
	s_delay_alu instid0(SALU_CYCLE_1) | instskip(SKIP_1) | instid1(VALU_DEP_1)
	s_sub_i32 s19, s39, s15
	s_cmp_lg_u32 s16, 0
	v_sub_co_u32 v3, s29, v2, s2
	s_subb_u32 s19, s19, s3
	s_cmp_lg_u32 s29, 0
	s_subb_u32 s19, s19, 0
	s_delay_alu instid0(VALU_DEP_1)
	v_cmp_le_u32_e32 vcc_lo, s2, v3
	s_cmp_ge_u32 s19, s3
	v_cmp_le_u32_e64 s2, s2, v2
	s_cselect_b32 s29, -1, 0
	s_cmp_eq_u32 s19, s3
	v_cndmask_b32_e64 v3, 0, -1, vcc_lo
	s_cselect_b32 vcc_lo, -1, 0
	s_add_u32 s19, s13, 1
	s_add_u32 s34, s13, 2
	s_cmp_lg_u32 s16, 0
	v_mov_b32_e32 v4, s34
	v_cndmask_b32_e64 v2, 0, -1, s2
	s_subb_u32 s2, s39, s15
	v_cndmask_b32_e32 v3, s29, v3, vcc_lo
	s_cmp_ge_u32 s2, s3
	s_cselect_b32 s15, -1, 0
	s_cmp_eq_u32 s2, s3
	s_cselect_b32 vcc_lo, -1, 0
	s_xor_b64 s[2:3], s[36:37], s[30:31]
	v_cndmask_b32_e32 v2, s15, v2, vcc_lo
	v_cmp_ne_u32_e32 vcc_lo, 0, v3
	v_cndmask_b32_e32 v3, s19, v4, vcc_lo
	s_delay_alu instid0(VALU_DEP_3) | instskip(NEXT) | instid1(VALU_DEP_2)
	v_cmp_ne_u32_e32 vcc_lo, 0, v2
	v_cndmask_b32_e32 v2, s13, v3, vcc_lo
	s_delay_alu instid0(VALU_DEP_1) | instskip(NEXT) | instid1(VALU_DEP_1)
	v_xor_b32_e32 v2, s2, v2
	v_sub_co_u32 v2, vcc_lo, v2, s2
	s_load_b32 s2, s[0:1], 0x5c
	s_and_not1_b32 vcc_lo, exec_lo, s28
	s_cbranch_vccnz .LBB3_10
.LBB3_9:
	v_cvt_f32_u32_e32 v2, s12
	s_sub_i32 s3, 0, s12
	s_delay_alu instid0(VALU_DEP_1) | instskip(SKIP_2) | instid1(VALU_DEP_1)
	v_rcp_iflag_f32_e32 v2, v2
	s_waitcnt_depctr 0xfff
	v_mul_f32_e32 v2, 0x4f7ffffe, v2
	v_cvt_u32_f32_e32 v2, v2
	s_delay_alu instid0(VALU_DEP_1) | instskip(NEXT) | instid1(VALU_DEP_1)
	v_mul_lo_u32 v3, s3, v2
	v_mul_hi_u32 v3, v2, v3
	s_delay_alu instid0(VALU_DEP_1) | instskip(NEXT) | instid1(VALU_DEP_1)
	v_add_nc_u32_e32 v2, v2, v3
	v_mul_hi_u32 v2, s14, v2
	s_delay_alu instid0(VALU_DEP_1) | instskip(SKIP_1) | instid1(VALU_DEP_2)
	v_mul_lo_u32 v3, v2, s12
	v_add_nc_u32_e32 v4, 1, v2
	v_sub_nc_u32_e32 v3, s14, v3
	s_delay_alu instid0(VALU_DEP_1) | instskip(SKIP_1) | instid1(VALU_DEP_2)
	v_subrev_nc_u32_e32 v5, s12, v3
	v_cmp_le_u32_e32 vcc_lo, s12, v3
	v_dual_cndmask_b32 v3, v3, v5 :: v_dual_cndmask_b32 v2, v2, v4
	s_delay_alu instid0(VALU_DEP_1) | instskip(NEXT) | instid1(VALU_DEP_2)
	v_cmp_le_u32_e32 vcc_lo, s12, v3
	v_add_nc_u32_e32 v4, 1, v2
	s_delay_alu instid0(VALU_DEP_1)
	v_cndmask_b32_e32 v2, v2, v4, vcc_lo
.LBB3_10:
	s_clause 0x1
	s_load_b128 s[12:15], s[0:1], 0x0
	s_load_b64 s[0:1], s[0:1], 0x10
	s_mul_i32 s3, s21, s20
	s_bfe_i64 s[30:31], s[26:27], 0x200000
	s_bfe_i64 s[28:29], s[22:23], 0x200000
	s_mul_hi_i32 s23, s21, s20
	s_mul_i32 s25, s3, s25
	s_mul_hi_u32 s27, s3, s24
	s_mul_i32 s23, s23, s24
	s_add_i32 s25, s27, s25
	s_mul_i32 s36, s3, s24
	s_add_i32 s37, s25, s23
	s_ashr_i32 s16, s20, 31
	s_lshl_b64 s[24:25], s[36:37], 1
	s_ashr_i32 s23, s21, 31
	s_waitcnt lgkmcnt(0)
	s_mul_hi_u32 s3, s6, s22
	s_mul_i32 s34, s6, s29
	s_mul_i32 s5, s5, s26
	s_mov_b32 s19, s20
	v_subrev_nc_u32_e32 v2, s22, v2
	s_add_u32 s24, s14, s24
	s_addc_u32 s25, s15, s25
	s_lshl_b64 s[14:15], s[36:37], 3
	v_cvt_f32_u32_e32 v4, s19
	s_add_u32 s27, s0, s14
	s_addc_u32 s28, s1, s15
	s_add_i32 s0, s3, s34
	s_mul_hi_u32 s3, s4, s26
	s_mul_i32 s14, s4, s31
	s_mul_i32 s1, s7, s22
	s_add_i32 s3, s3, s14
	s_add_i32 s1, s0, s1
	s_mul_i32 s0, s6, s22
	s_add_i32 s5, s3, s5
	s_mul_i32 s4, s4, s26
	s_lshl_b64 s[0:1], s[0:1], 1
	s_lshl_b64 s[4:5], s[4:5], 1
	s_and_b32 s29, s33, 0xffff
	s_ashr_i32 s30, s17, 31
	s_ashr_i32 s26, s18, 31
	s_add_u32 s0, s0, s4
	s_addc_u32 s1, s1, s5
	s_add_u32 s12, s12, s0
	s_addc_u32 s13, s13, s1
	s_ashr_i32 s31, s20, 31
	v_rcp_iflag_f32_e32 v4, v4
	s_add_i32 s0, s20, s31
	s_sub_i32 s1, 0, s20
	s_xor_b32 s33, s0, s31
	v_and_b32_e32 v0, 0x3ff, v0
	v_cvt_f32_u32_e32 v3, s33
	s_sub_i32 s0, 0, s33
	v_add_nc_u32_e32 v7, 1, v2
	s_mov_b32 s34, s21
	s_mul_i32 s35, s2, s35
	v_rcp_iflag_f32_e32 v3, v3
	s_waitcnt_depctr 0xfff
	v_mul_f32_e32 v4, 0x4f7ffffe, v4
	v_max_i32_e32 v16, 1, v7
	s_mov_b32 s36, s17
	s_mul_i32 s37, s22, s17
	s_lshl_b64 s[8:9], s[8:9], 1
	v_cvt_u32_f32_e32 v4, v4
	s_lshl_b64 s[10:11], s[10:11], 1
	s_lshl_b64 s[6:7], s[6:7], 1
	s_mul_i32 s38, s18, s17
	v_mul_f32_e32 v3, 0x4f7ffffe, v3
	v_mul_lo_u32 v6, s1, v4
	v_cmp_gt_u32_e64 s1, 0x7fffffff, v2
	s_mov_b32 s39, 0
	s_delay_alu instid0(VALU_DEP_3) | instskip(NEXT) | instid1(VALU_DEP_3)
	v_cvt_u32_f32_e32 v5, v3
	v_mul_hi_u32 v6, v4, v6
	s_delay_alu instid0(VALU_DEP_2) | instskip(NEXT) | instid1(VALU_DEP_2)
	v_mul_lo_u32 v3, s0, v5
	v_add_nc_u32_e32 v18, v4, v6
	s_delay_alu instid0(VALU_DEP_2) | instskip(SKIP_2) | instid1(VALU_DEP_3)
	v_mul_hi_u32 v8, v5, v3
	v_mov_b32_e32 v3, 0
	v_cmp_gt_i32_e64 s0, s21, v0
	v_add_nc_u32_e32 v17, v5, v8
	s_branch .LBB3_12
.LBB3_11:                               ;   in Loop: Header=BB3_12 Depth=1
	s_or_b32 exec_lo, exec_lo, s40
	v_add_nc_u32_e32 v1, s35, v1
	s_delay_alu instid0(VALU_DEP_1) | instskip(SKIP_1) | instid1(SALU_CYCLE_1)
	v_cmp_le_i32_e32 vcc_lo, s20, v1
	s_or_b32 s39, vcc_lo, s39
	s_and_not1_b32 exec_lo, exec_lo, s39
	s_cbranch_execz .LBB3_50
.LBB3_12:                               ; =>This Loop Header: Depth=1
                                        ;     Child Loop BB3_27 Depth 2
                                        ;       Child Loop BB3_43 Depth 3
                                        ;         Child Loop BB3_46 Depth 4
                                        ;           Child Loop BB3_48 Depth 5
	v_ashrrev_i32_e32 v7, 31, v1
	v_mov_b32_e32 v4, v3
	s_delay_alu instid0(VALU_DEP_2) | instskip(NEXT) | instid1(VALU_DEP_1)
	v_or_b32_e32 v5, s16, v7
	v_cmp_ne_u64_e32 vcc_lo, 0, v[4:5]
                                        ; implicit-def: $vgpr4_vgpr5
	s_and_saveexec_b32 s2, vcc_lo
	s_delay_alu instid0(SALU_CYCLE_1)
	s_xor_b32 s2, exec_lo, s2
	s_cbranch_execz .LBB3_14
; %bb.13:                               ;   in Loop: Header=BB3_12 Depth=1
	v_ashrrev_i32_e32 v2, 31, v1
	s_delay_alu instid0(VALU_DEP_1) | instskip(NEXT) | instid1(VALU_DEP_1)
	v_add_nc_u32_e32 v4, v1, v2
	v_xor_b32_e32 v4, v4, v2
	v_xor_b32_e32 v2, s31, v2
	s_delay_alu instid0(VALU_DEP_2) | instskip(NEXT) | instid1(VALU_DEP_1)
	v_mul_hi_u32 v5, v4, v17
	v_mul_lo_u32 v6, v5, s33
	s_delay_alu instid0(VALU_DEP_1) | instskip(SKIP_1) | instid1(VALU_DEP_2)
	v_sub_nc_u32_e32 v4, v4, v6
	v_add_nc_u32_e32 v6, 1, v5
	v_subrev_nc_u32_e32 v8, s33, v4
	v_cmp_le_u32_e32 vcc_lo, s33, v4
	s_delay_alu instid0(VALU_DEP_2) | instskip(NEXT) | instid1(VALU_DEP_1)
	v_dual_cndmask_b32 v4, v4, v8 :: v_dual_cndmask_b32 v5, v5, v6
	v_cmp_le_u32_e32 vcc_lo, s33, v4
	s_delay_alu instid0(VALU_DEP_2) | instskip(NEXT) | instid1(VALU_DEP_1)
	v_add_nc_u32_e32 v6, 1, v5
	v_cndmask_b32_e32 v4, v5, v6, vcc_lo
	s_delay_alu instid0(VALU_DEP_1) | instskip(NEXT) | instid1(VALU_DEP_1)
	v_xor_b32_e32 v4, v4, v2
	v_sub_nc_u32_e32 v4, v4, v2
	s_delay_alu instid0(VALU_DEP_1)
	v_ashrrev_i32_e32 v5, 31, v4
.LBB3_14:                               ;   in Loop: Header=BB3_12 Depth=1
	s_and_not1_saveexec_b32 s2, s2
	s_cbranch_execz .LBB3_16
; %bb.15:                               ;   in Loop: Header=BB3_12 Depth=1
	v_mul_hi_u32 v2, v1, v18
	s_delay_alu instid0(VALU_DEP_1) | instskip(SKIP_1) | instid1(VALU_DEP_2)
	v_mul_lo_u32 v4, v2, s19
	v_add_nc_u32_e32 v5, 1, v2
	v_sub_nc_u32_e32 v4, v1, v4
	s_delay_alu instid0(VALU_DEP_1) | instskip(SKIP_1) | instid1(VALU_DEP_2)
	v_subrev_nc_u32_e32 v6, s19, v4
	v_cmp_le_u32_e32 vcc_lo, s19, v4
	v_cndmask_b32_e32 v4, v4, v6, vcc_lo
	v_cndmask_b32_e32 v2, v2, v5, vcc_lo
	s_delay_alu instid0(VALU_DEP_2) | instskip(NEXT) | instid1(VALU_DEP_2)
	v_cmp_le_u32_e32 vcc_lo, s19, v4
	v_add_nc_u32_e32 v5, 1, v2
	s_delay_alu instid0(VALU_DEP_1) | instskip(NEXT) | instid1(VALU_DEP_1)
	v_cndmask_b32_e32 v2, v2, v5, vcc_lo
	v_dual_mov_b32 v5, v3 :: v_dual_mov_b32 v4, v2
.LBB3_16:                               ;   in Loop: Header=BB3_12 Depth=1
	s_or_b32 exec_lo, exec_lo, s2
	s_delay_alu instid0(VALU_DEP_1) | instskip(NEXT) | instid1(VALU_DEP_2)
	v_mul_lo_u32 v2, v5, s19
	v_mul_lo_u32 v8, v4, s16
	v_mad_u64_u32 v[5:6], null, v4, s19, 0
	s_delay_alu instid0(VALU_DEP_1) | instskip(NEXT) | instid1(VALU_DEP_2)
	v_add3_u32 v2, v6, v8, v2
	v_sub_co_u32 v8, vcc_lo, v1, v5
	s_delay_alu instid0(VALU_DEP_2) | instskip(NEXT) | instid1(VALU_DEP_2)
	v_sub_co_ci_u32_e32 v2, vcc_lo, v7, v2, vcc_lo
	v_mul_lo_u32 v9, v8, s30
	v_mad_u64_u32 v[5:6], null, v8, s36, 0
	s_delay_alu instid0(VALU_DEP_3) | instskip(SKIP_1) | instid1(VALU_DEP_2)
	v_mul_lo_u32 v2, v2, s36
	v_mov_b32_e32 v8, v3
	v_add3_u32 v6, v6, v9, v2
	s_delay_alu instid0(VALU_DEP_1) | instskip(NEXT) | instid1(VALU_DEP_1)
	v_or_b32_e32 v9, s16, v6
	v_cmp_ne_u64_e32 vcc_lo, 0, v[8:9]
                                        ; implicit-def: $vgpr8_vgpr9
	s_and_saveexec_b32 s2, vcc_lo
	s_delay_alu instid0(SALU_CYCLE_1)
	s_xor_b32 s3, exec_lo, s2
	s_cbranch_execz .LBB3_18
; %bb.17:                               ;   in Loop: Header=BB3_12 Depth=1
	s_add_u32 s14, s19, s16
	s_mov_b32 s4, s16
	s_mov_b32 s5, s16
	s_addc_u32 s15, s16, s16
	s_delay_alu instid0(SALU_CYCLE_1) | instskip(NEXT) | instid1(SALU_CYCLE_1)
	s_xor_b64 s[14:15], s[14:15], s[4:5]
	v_cvt_f32_u32_e32 v2, s14
	v_cvt_f32_u32_e32 v8, s15
	s_sub_u32 s2, 0, s14
	s_subb_u32 s40, 0, s15
	s_delay_alu instid0(VALU_DEP_1) | instskip(NEXT) | instid1(VALU_DEP_1)
	v_fmac_f32_e32 v2, 0x4f800000, v8
	v_rcp_f32_e32 v2, v2
	s_waitcnt_depctr 0xfff
	v_mul_f32_e32 v2, 0x5f7ffffc, v2
	s_delay_alu instid0(VALU_DEP_1) | instskip(NEXT) | instid1(VALU_DEP_1)
	v_mul_f32_e32 v8, 0x2f800000, v2
	v_trunc_f32_e32 v8, v8
	s_delay_alu instid0(VALU_DEP_1) | instskip(SKIP_1) | instid1(VALU_DEP_2)
	v_fmac_f32_e32 v2, 0xcf800000, v8
	v_cvt_u32_f32_e32 v8, v8
	v_cvt_u32_f32_e32 v2, v2
	s_delay_alu instid0(VALU_DEP_2) | instskip(NEXT) | instid1(VALU_DEP_2)
	v_mul_lo_u32 v9, s2, v8
	v_mul_hi_u32 v10, s2, v2
	v_mul_lo_u32 v11, s40, v2
	s_delay_alu instid0(VALU_DEP_2) | instskip(SKIP_1) | instid1(VALU_DEP_2)
	v_add_nc_u32_e32 v9, v10, v9
	v_mul_lo_u32 v10, s2, v2
	v_add_nc_u32_e32 v9, v9, v11
	s_delay_alu instid0(VALU_DEP_2) | instskip(NEXT) | instid1(VALU_DEP_2)
	v_mul_hi_u32 v11, v2, v10
	v_mul_lo_u32 v12, v2, v9
	v_mul_hi_u32 v13, v2, v9
	v_mul_hi_u32 v14, v8, v10
	v_mul_lo_u32 v10, v8, v10
	v_mul_hi_u32 v15, v8, v9
	v_mul_lo_u32 v9, v8, v9
	v_add_co_u32 v11, vcc_lo, v11, v12
	v_add_co_ci_u32_e32 v12, vcc_lo, 0, v13, vcc_lo
	s_delay_alu instid0(VALU_DEP_2) | instskip(NEXT) | instid1(VALU_DEP_2)
	v_add_co_u32 v10, vcc_lo, v11, v10
	v_add_co_ci_u32_e32 v10, vcc_lo, v12, v14, vcc_lo
	v_add_co_ci_u32_e32 v11, vcc_lo, 0, v15, vcc_lo
	v_ashrrev_i32_e32 v14, 31, v6
	s_delay_alu instid0(VALU_DEP_3) | instskip(NEXT) | instid1(VALU_DEP_3)
	v_add_co_u32 v9, vcc_lo, v10, v9
	v_add_co_ci_u32_e32 v10, vcc_lo, 0, v11, vcc_lo
	s_delay_alu instid0(VALU_DEP_2) | instskip(NEXT) | instid1(VALU_DEP_2)
	v_add_co_u32 v2, vcc_lo, v2, v9
	v_add_co_ci_u32_e32 v8, vcc_lo, v8, v10, vcc_lo
	s_delay_alu instid0(VALU_DEP_2) | instskip(SKIP_1) | instid1(VALU_DEP_3)
	v_mul_hi_u32 v9, s2, v2
	v_mul_lo_u32 v11, s40, v2
	v_mul_lo_u32 v10, s2, v8
	s_delay_alu instid0(VALU_DEP_1) | instskip(SKIP_1) | instid1(VALU_DEP_2)
	v_add_nc_u32_e32 v9, v9, v10
	v_mul_lo_u32 v10, s2, v2
	v_add_nc_u32_e32 v9, v9, v11
	s_delay_alu instid0(VALU_DEP_2) | instskip(NEXT) | instid1(VALU_DEP_2)
	v_mul_hi_u32 v11, v2, v10
	v_mul_lo_u32 v12, v2, v9
	v_mul_hi_u32 v13, v2, v9
	v_mul_hi_u32 v15, v8, v10
	v_mul_lo_u32 v10, v8, v10
	v_mul_hi_u32 v19, v8, v9
	v_mul_lo_u32 v9, v8, v9
	v_add_co_u32 v11, vcc_lo, v11, v12
	v_add_co_ci_u32_e32 v12, vcc_lo, 0, v13, vcc_lo
	s_delay_alu instid0(VALU_DEP_2) | instskip(NEXT) | instid1(VALU_DEP_2)
	v_add_co_u32 v10, vcc_lo, v11, v10
	v_add_co_ci_u32_e32 v10, vcc_lo, v12, v15, vcc_lo
	v_add_co_ci_u32_e32 v11, vcc_lo, 0, v19, vcc_lo
	v_add_co_u32 v5, vcc_lo, v5, v14
	v_add_co_ci_u32_e32 v6, vcc_lo, v6, v14, vcc_lo
	s_delay_alu instid0(VALU_DEP_4) | instskip(NEXT) | instid1(VALU_DEP_4)
	v_add_co_u32 v9, vcc_lo, v10, v9
	v_add_co_ci_u32_e32 v10, vcc_lo, 0, v11, vcc_lo
	s_delay_alu instid0(VALU_DEP_4) | instskip(NEXT) | instid1(VALU_DEP_3)
	v_xor_b32_e32 v12, v5, v14
	v_add_co_u32 v2, vcc_lo, v2, v9
	s_delay_alu instid0(VALU_DEP_3) | instskip(SKIP_1) | instid1(VALU_DEP_3)
	v_add_co_ci_u32_e32 v13, vcc_lo, v8, v10, vcc_lo
	v_xor_b32_e32 v15, v6, v14
	v_mul_hi_u32 v19, v12, v2
	s_delay_alu instid0(VALU_DEP_3) | instskip(NEXT) | instid1(VALU_DEP_3)
	v_mad_u64_u32 v[5:6], null, v12, v13, 0
	v_mad_u64_u32 v[8:9], null, v15, v2, 0
	;; [unrolled: 1-line block ×3, first 2 shown]
	s_delay_alu instid0(VALU_DEP_3) | instskip(NEXT) | instid1(VALU_DEP_4)
	v_add_co_u32 v2, vcc_lo, v19, v5
	v_add_co_ci_u32_e32 v5, vcc_lo, 0, v6, vcc_lo
	s_delay_alu instid0(VALU_DEP_2) | instskip(NEXT) | instid1(VALU_DEP_2)
	v_add_co_u32 v2, vcc_lo, v2, v8
	v_add_co_ci_u32_e32 v2, vcc_lo, v5, v9, vcc_lo
	v_add_co_ci_u32_e32 v5, vcc_lo, 0, v11, vcc_lo
	s_delay_alu instid0(VALU_DEP_2) | instskip(NEXT) | instid1(VALU_DEP_2)
	v_add_co_u32 v2, vcc_lo, v2, v10
	v_add_co_ci_u32_e32 v8, vcc_lo, 0, v5, vcc_lo
	s_delay_alu instid0(VALU_DEP_2) | instskip(SKIP_1) | instid1(VALU_DEP_3)
	v_mul_lo_u32 v9, s15, v2
	v_mad_u64_u32 v[5:6], null, s14, v2, 0
	v_mul_lo_u32 v10, s14, v8
	s_delay_alu instid0(VALU_DEP_2) | instskip(NEXT) | instid1(VALU_DEP_2)
	v_sub_co_u32 v5, vcc_lo, v12, v5
	v_add3_u32 v6, v6, v10, v9
	s_delay_alu instid0(VALU_DEP_1) | instskip(NEXT) | instid1(VALU_DEP_1)
	v_sub_nc_u32_e32 v9, v15, v6
	v_subrev_co_ci_u32_e64 v9, s2, s15, v9, vcc_lo
	v_add_co_u32 v10, s2, v2, 2
	s_delay_alu instid0(VALU_DEP_1) | instskip(SKIP_3) | instid1(VALU_DEP_3)
	v_add_co_ci_u32_e64 v11, s2, 0, v8, s2
	v_sub_co_u32 v12, s2, v5, s14
	v_sub_co_ci_u32_e32 v6, vcc_lo, v15, v6, vcc_lo
	v_subrev_co_ci_u32_e64 v9, s2, 0, v9, s2
	v_cmp_le_u32_e32 vcc_lo, s14, v12
	s_delay_alu instid0(VALU_DEP_3) | instskip(SKIP_1) | instid1(VALU_DEP_4)
	v_cmp_eq_u32_e64 s2, s15, v6
	v_cndmask_b32_e64 v12, 0, -1, vcc_lo
	v_cmp_le_u32_e32 vcc_lo, s15, v9
	v_cndmask_b32_e64 v13, 0, -1, vcc_lo
	v_cmp_le_u32_e32 vcc_lo, s14, v5
	;; [unrolled: 2-line block ×3, first 2 shown]
	v_cndmask_b32_e64 v15, 0, -1, vcc_lo
	v_cmp_eq_u32_e32 vcc_lo, s15, v9
	s_delay_alu instid0(VALU_DEP_2) | instskip(SKIP_3) | instid1(VALU_DEP_3)
	v_cndmask_b32_e64 v5, v15, v5, s2
	v_cndmask_b32_e32 v9, v13, v12, vcc_lo
	v_add_co_u32 v12, vcc_lo, v2, 1
	v_add_co_ci_u32_e32 v13, vcc_lo, 0, v8, vcc_lo
	v_cmp_ne_u32_e32 vcc_lo, 0, v9
	s_delay_alu instid0(VALU_DEP_2) | instskip(SKIP_2) | instid1(VALU_DEP_3)
	v_dual_cndmask_b32 v6, v13, v11 :: v_dual_cndmask_b32 v9, v12, v10
	v_cmp_ne_u32_e32 vcc_lo, 0, v5
	v_xor_b32_e32 v5, s4, v14
	v_cndmask_b32_e32 v2, v2, v9, vcc_lo
	s_delay_alu instid0(VALU_DEP_4) | instskip(SKIP_1) | instid1(VALU_DEP_3)
	v_cndmask_b32_e32 v6, v8, v6, vcc_lo
	v_xor_b32_e32 v9, s5, v14
	v_xor_b32_e32 v2, v2, v5
	s_delay_alu instid0(VALU_DEP_2) | instskip(NEXT) | instid1(VALU_DEP_2)
	v_xor_b32_e32 v6, v6, v9
	v_sub_co_u32 v8, vcc_lo, v2, v5
	s_delay_alu instid0(VALU_DEP_2)
	v_sub_co_ci_u32_e32 v9, vcc_lo, v6, v9, vcc_lo
                                        ; implicit-def: $vgpr5_vgpr6
.LBB3_18:                               ;   in Loop: Header=BB3_12 Depth=1
	s_and_not1_saveexec_b32 s2, s3
; %bb.19:                               ;   in Loop: Header=BB3_12 Depth=1
	v_mul_hi_u32 v2, v5, v18
	s_delay_alu instid0(VALU_DEP_1) | instskip(NEXT) | instid1(VALU_DEP_1)
	v_mul_lo_u32 v6, v2, s19
	v_sub_nc_u32_e32 v5, v5, v6
	s_delay_alu instid0(VALU_DEP_1) | instskip(SKIP_1) | instid1(VALU_DEP_2)
	v_subrev_nc_u32_e32 v8, s19, v5
	v_cmp_le_u32_e32 vcc_lo, s19, v5
	v_dual_cndmask_b32 v5, v5, v8 :: v_dual_add_nc_u32 v6, 1, v2
	s_delay_alu instid0(VALU_DEP_1) | instskip(NEXT) | instid1(VALU_DEP_2)
	v_cndmask_b32_e32 v2, v2, v6, vcc_lo
	v_cmp_le_u32_e32 vcc_lo, s19, v5
	s_delay_alu instid0(VALU_DEP_2) | instskip(NEXT) | instid1(VALU_DEP_1)
	v_add_nc_u32_e32 v6, 1, v2
	v_cndmask_b32_e32 v2, v2, v6, vcc_lo
	s_delay_alu instid0(VALU_DEP_1)
	v_dual_mov_b32 v9, v3 :: v_dual_mov_b32 v8, v2
; %bb.20:                               ;   in Loop: Header=BB3_12 Depth=1
	s_or_b32 exec_lo, exec_lo, s2
	v_add_co_u32 v2, vcc_lo, v1, 1
	v_add_co_ci_u32_e32 v5, vcc_lo, 0, v7, vcc_lo
	s_delay_alu instid0(VALU_DEP_2) | instskip(NEXT) | instid1(VALU_DEP_2)
	v_mul_lo_u32 v7, v2, s30
	v_mul_lo_u32 v10, v5, s36
	v_mad_u64_u32 v[5:6], null, v2, s36, -1
	s_delay_alu instid0(VALU_DEP_1) | instskip(SKIP_1) | instid1(VALU_DEP_2)
	v_add3_u32 v6, v10, v6, v7
	v_mov_b32_e32 v10, v3
	v_or_b32_e32 v11, s16, v6
	s_delay_alu instid0(VALU_DEP_1) | instskip(SKIP_1) | instid1(SALU_CYCLE_1)
	v_cmp_ne_u64_e32 vcc_lo, 0, v[10:11]
                                        ; implicit-def: $vgpr10_vgpr11
	s_and_saveexec_b32 s2, vcc_lo
	s_xor_b32 s3, exec_lo, s2
	s_cbranch_execnz .LBB3_23
; %bb.21:                               ;   in Loop: Header=BB3_12 Depth=1
	s_and_not1_saveexec_b32 s2, s3
	s_cbranch_execnz .LBB3_24
.LBB3_22:                               ;   in Loop: Header=BB3_12 Depth=1
	s_or_b32 exec_lo, exec_lo, s2
	s_and_saveexec_b32 s40, s0
	s_cbranch_execz .LBB3_11
	s_branch .LBB3_25
.LBB3_23:                               ;   in Loop: Header=BB3_12 Depth=1
	s_add_u32 s14, s19, s16
	s_mov_b32 s4, s16
	s_mov_b32 s5, s16
	s_addc_u32 s15, s16, s16
	s_delay_alu instid0(SALU_CYCLE_1) | instskip(NEXT) | instid1(SALU_CYCLE_1)
	s_xor_b64 s[14:15], s[14:15], s[4:5]
	v_cvt_f32_u32_e32 v2, s14
	v_cvt_f32_u32_e32 v7, s15
	s_sub_u32 s2, 0, s14
	s_subb_u32 s5, 0, s15
	s_delay_alu instid0(VALU_DEP_1) | instskip(NEXT) | instid1(VALU_DEP_1)
	v_fmac_f32_e32 v2, 0x4f800000, v7
	v_rcp_f32_e32 v2, v2
	s_waitcnt_depctr 0xfff
	v_mul_f32_e32 v2, 0x5f7ffffc, v2
	s_delay_alu instid0(VALU_DEP_1) | instskip(NEXT) | instid1(VALU_DEP_1)
	v_mul_f32_e32 v7, 0x2f800000, v2
	v_trunc_f32_e32 v7, v7
	s_delay_alu instid0(VALU_DEP_1) | instskip(SKIP_1) | instid1(VALU_DEP_2)
	v_fmac_f32_e32 v2, 0xcf800000, v7
	v_cvt_u32_f32_e32 v7, v7
	v_cvt_u32_f32_e32 v2, v2
	s_delay_alu instid0(VALU_DEP_2) | instskip(NEXT) | instid1(VALU_DEP_2)
	v_mul_lo_u32 v10, s2, v7
	v_mul_hi_u32 v11, s2, v2
	v_mul_lo_u32 v12, s5, v2
	s_delay_alu instid0(VALU_DEP_2) | instskip(SKIP_1) | instid1(VALU_DEP_2)
	v_add_nc_u32_e32 v10, v11, v10
	v_mul_lo_u32 v11, s2, v2
	v_add_nc_u32_e32 v10, v10, v12
	s_delay_alu instid0(VALU_DEP_2) | instskip(NEXT) | instid1(VALU_DEP_2)
	v_mul_hi_u32 v12, v2, v11
	v_mul_lo_u32 v13, v2, v10
	v_mul_hi_u32 v14, v2, v10
	v_mul_hi_u32 v15, v7, v11
	v_mul_lo_u32 v11, v7, v11
	v_mul_hi_u32 v19, v7, v10
	v_mul_lo_u32 v10, v7, v10
	v_add_co_u32 v12, vcc_lo, v12, v13
	v_add_co_ci_u32_e32 v13, vcc_lo, 0, v14, vcc_lo
	s_delay_alu instid0(VALU_DEP_2) | instskip(NEXT) | instid1(VALU_DEP_2)
	v_add_co_u32 v11, vcc_lo, v12, v11
	v_add_co_ci_u32_e32 v11, vcc_lo, v13, v15, vcc_lo
	v_add_co_ci_u32_e32 v12, vcc_lo, 0, v19, vcc_lo
	v_ashrrev_i32_e32 v15, 31, v6
	s_delay_alu instid0(VALU_DEP_3) | instskip(NEXT) | instid1(VALU_DEP_3)
	v_add_co_u32 v10, vcc_lo, v11, v10
	v_add_co_ci_u32_e32 v11, vcc_lo, 0, v12, vcc_lo
	s_delay_alu instid0(VALU_DEP_2) | instskip(NEXT) | instid1(VALU_DEP_2)
	v_add_co_u32 v2, vcc_lo, v2, v10
	v_add_co_ci_u32_e32 v7, vcc_lo, v7, v11, vcc_lo
	s_delay_alu instid0(VALU_DEP_2) | instskip(SKIP_1) | instid1(VALU_DEP_3)
	v_mul_hi_u32 v10, s2, v2
	v_mul_lo_u32 v12, s5, v2
	v_mul_lo_u32 v11, s2, v7
	s_delay_alu instid0(VALU_DEP_1) | instskip(SKIP_1) | instid1(VALU_DEP_2)
	v_add_nc_u32_e32 v10, v10, v11
	v_mul_lo_u32 v11, s2, v2
	v_add_nc_u32_e32 v10, v10, v12
	s_delay_alu instid0(VALU_DEP_2) | instskip(NEXT) | instid1(VALU_DEP_2)
	v_mul_hi_u32 v12, v2, v11
	v_mul_lo_u32 v13, v2, v10
	v_mul_hi_u32 v14, v2, v10
	v_mul_hi_u32 v19, v7, v11
	v_mul_lo_u32 v11, v7, v11
	v_mul_hi_u32 v20, v7, v10
	v_mul_lo_u32 v10, v7, v10
	v_add_co_u32 v12, vcc_lo, v12, v13
	v_add_co_ci_u32_e32 v13, vcc_lo, 0, v14, vcc_lo
	s_delay_alu instid0(VALU_DEP_2) | instskip(NEXT) | instid1(VALU_DEP_2)
	v_add_co_u32 v11, vcc_lo, v12, v11
	v_add_co_ci_u32_e32 v11, vcc_lo, v13, v19, vcc_lo
	v_add_co_ci_u32_e32 v12, vcc_lo, 0, v20, vcc_lo
	v_add_co_u32 v5, vcc_lo, v5, v15
	v_add_co_ci_u32_e32 v6, vcc_lo, v6, v15, vcc_lo
	s_delay_alu instid0(VALU_DEP_4) | instskip(NEXT) | instid1(VALU_DEP_4)
	v_add_co_u32 v10, vcc_lo, v11, v10
	v_add_co_ci_u32_e32 v11, vcc_lo, 0, v12, vcc_lo
	s_delay_alu instid0(VALU_DEP_4) | instskip(NEXT) | instid1(VALU_DEP_3)
	v_xor_b32_e32 v14, v5, v15
	v_add_co_u32 v2, vcc_lo, v2, v10
	s_delay_alu instid0(VALU_DEP_3) | instskip(SKIP_1) | instid1(VALU_DEP_3)
	v_add_co_ci_u32_e32 v7, vcc_lo, v7, v11, vcc_lo
	v_xor_b32_e32 v19, v6, v15
	v_mul_hi_u32 v20, v14, v2
	s_delay_alu instid0(VALU_DEP_3) | instskip(NEXT) | instid1(VALU_DEP_3)
	v_mad_u64_u32 v[5:6], null, v14, v7, 0
	v_mad_u64_u32 v[10:11], null, v19, v2, 0
	;; [unrolled: 1-line block ×3, first 2 shown]
	s_delay_alu instid0(VALU_DEP_3) | instskip(NEXT) | instid1(VALU_DEP_4)
	v_add_co_u32 v2, vcc_lo, v20, v5
	v_add_co_ci_u32_e32 v5, vcc_lo, 0, v6, vcc_lo
	s_delay_alu instid0(VALU_DEP_2) | instskip(NEXT) | instid1(VALU_DEP_2)
	v_add_co_u32 v2, vcc_lo, v2, v10
	v_add_co_ci_u32_e32 v2, vcc_lo, v5, v11, vcc_lo
	v_add_co_ci_u32_e32 v5, vcc_lo, 0, v13, vcc_lo
	s_delay_alu instid0(VALU_DEP_2) | instskip(NEXT) | instid1(VALU_DEP_2)
	v_add_co_u32 v2, vcc_lo, v2, v12
	v_add_co_ci_u32_e32 v7, vcc_lo, 0, v5, vcc_lo
	s_delay_alu instid0(VALU_DEP_2) | instskip(SKIP_1) | instid1(VALU_DEP_3)
	v_mul_lo_u32 v10, s15, v2
	v_mad_u64_u32 v[5:6], null, s14, v2, 0
	v_mul_lo_u32 v7, s14, v7
	s_delay_alu instid0(VALU_DEP_2) | instskip(NEXT) | instid1(VALU_DEP_2)
	v_sub_co_u32 v5, vcc_lo, v14, v5
	v_add3_u32 v6, v6, v7, v10
	v_add_co_u32 v10, s2, v2, 2
	s_delay_alu instid0(VALU_DEP_2) | instskip(NEXT) | instid1(VALU_DEP_1)
	v_sub_nc_u32_e32 v7, v19, v6
	v_subrev_co_ci_u32_e64 v7, s2, s15, v7, vcc_lo
	v_sub_co_u32 v11, s2, v5, s14
	v_sub_co_ci_u32_e32 v6, vcc_lo, v19, v6, vcc_lo
	s_delay_alu instid0(VALU_DEP_3) | instskip(NEXT) | instid1(VALU_DEP_3)
	v_subrev_co_ci_u32_e64 v7, s2, 0, v7, s2
	v_cmp_le_u32_e32 vcc_lo, s14, v11
	v_cndmask_b32_e64 v11, 0, -1, vcc_lo
	s_delay_alu instid0(VALU_DEP_3)
	v_cmp_le_u32_e32 vcc_lo, s15, v7
	v_cndmask_b32_e64 v12, 0, -1, vcc_lo
	v_cmp_le_u32_e32 vcc_lo, s14, v5
	v_cndmask_b32_e64 v5, 0, -1, vcc_lo
	;; [unrolled: 2-line block ×3, first 2 shown]
	v_cmp_eq_u32_e32 vcc_lo, s15, v7
	v_cndmask_b32_e32 v7, v12, v11, vcc_lo
	v_add_co_u32 v11, vcc_lo, v2, 1
	v_cmp_eq_u32_e32 vcc_lo, s15, v6
	v_cndmask_b32_e32 v5, v13, v5, vcc_lo
	s_delay_alu instid0(VALU_DEP_4) | instskip(NEXT) | instid1(VALU_DEP_4)
	v_cmp_ne_u32_e32 vcc_lo, 0, v7
	v_cndmask_b32_e32 v6, v11, v10, vcc_lo
	s_delay_alu instid0(VALU_DEP_3) | instskip(SKIP_1) | instid1(VALU_DEP_3)
	v_cmp_ne_u32_e32 vcc_lo, 0, v5
	v_xor_b32_e32 v5, s4, v15
	v_cndmask_b32_e32 v2, v2, v6, vcc_lo
	s_delay_alu instid0(VALU_DEP_1) | instskip(NEXT) | instid1(VALU_DEP_1)
	v_xor_b32_e32 v2, v2, v5
	v_sub_co_u32 v10, vcc_lo, v2, v5
                                        ; implicit-def: $vgpr5_vgpr6
	s_and_not1_saveexec_b32 s2, s3
	s_cbranch_execz .LBB3_22
.LBB3_24:                               ;   in Loop: Header=BB3_12 Depth=1
	v_mul_hi_u32 v2, v5, v18
	s_delay_alu instid0(VALU_DEP_1) | instskip(NEXT) | instid1(VALU_DEP_1)
	v_mul_lo_u32 v6, v2, s19
	v_sub_nc_u32_e32 v5, v5, v6
	s_delay_alu instid0(VALU_DEP_1) | instskip(SKIP_1) | instid1(VALU_DEP_2)
	v_subrev_nc_u32_e32 v7, s19, v5
	v_cmp_le_u32_e32 vcc_lo, s19, v5
	v_dual_cndmask_b32 v5, v5, v7 :: v_dual_add_nc_u32 v6, 1, v2
	s_delay_alu instid0(VALU_DEP_1) | instskip(NEXT) | instid1(VALU_DEP_2)
	v_cndmask_b32_e32 v2, v2, v6, vcc_lo
	v_cmp_le_u32_e32 vcc_lo, s19, v5
	s_delay_alu instid0(VALU_DEP_2) | instskip(NEXT) | instid1(VALU_DEP_1)
	v_add_nc_u32_e32 v6, 1, v2
	v_cndmask_b32_e32 v10, v2, v6, vcc_lo
	s_or_b32 exec_lo, exec_lo, s2
	s_and_saveexec_b32 s40, s0
	s_cbranch_execz .LBB3_11
.LBB3_25:                               ;   in Loop: Header=BB3_12 Depth=1
	v_mul_lo_u32 v6, v1, s21
	v_mad_u64_u32 v[11:12], null, v4, s36, v[8:9]
	v_add_nc_u32_e32 v2, s22, v4
	s_mov_b32 s41, 0
	s_delay_alu instid0(VALU_DEP_3) | instskip(NEXT) | instid1(VALU_DEP_3)
	v_ashrrev_i32_e32 v7, 31, v6
	v_sub_nc_u32_e32 v12, v10, v11
	v_ashrrev_i32_e32 v13, 31, v11
	v_add_nc_u32_e32 v14, s37, v11
	v_mul_lo_u32 v15, s9, v11
	v_lshlrev_b64 v[9:10], 1, v[6:7]
	v_lshlrev_b64 v[6:7], 3, v[6:7]
	v_mad_u64_u32 v[4:5], null, s8, v11, s[12:13]
	v_mul_lo_u32 v11, s8, v13
	v_add_nc_u32_e32 v19, 1, v12
	v_add_co_u32 v20, vcc_lo, s24, v9
	v_add_co_ci_u32_e32 v21, vcc_lo, s25, v10, vcc_lo
	v_add_co_u32 v22, vcc_lo, s27, v6
	v_add_co_ci_u32_e32 v23, vcc_lo, s28, v7, vcc_lo
	v_mul_lo_u32 v24, v14, s18
	v_mad_u64_u32 v[6:7], null, s17, v2, v[8:9]
	v_mov_b32_e32 v2, v0
	v_cmp_lt_i32_e64 s2, 0, v19
	v_add3_u32 v5, v15, v5, v11
	s_branch .LBB3_27
.LBB3_26:                               ;   in Loop: Header=BB3_27 Depth=2
	v_lshlrev_b64 v[7:8], 1, v[2:3]
	v_lshlrev_b64 v[11:12], 3, v[2:3]
	v_add_nc_u32_e32 v2, s29, v2
	s_delay_alu instid0(VALU_DEP_3) | instskip(NEXT) | instid1(VALU_DEP_4)
	v_add_co_u32 v7, vcc_lo, v20, v7
	v_add_co_ci_u32_e32 v8, vcc_lo, v21, v8, vcc_lo
	s_delay_alu instid0(VALU_DEP_3) | instskip(SKIP_1) | instid1(VALU_DEP_1)
	v_cmp_le_i32_e32 vcc_lo, s21, v2
	v_add_co_u32 v11, s3, v22, v11
	v_add_co_ci_u32_e64 v12, s3, v23, v12, s3
	s_or_b32 s41, vcc_lo, s41
	global_store_b16 v[7:8], v25, off
	global_store_b64 v[11:12], v[9:10], off
	s_and_not1_b32 exec_lo, exec_lo, s41
	s_cbranch_execz .LBB3_11
.LBB3_27:                               ;   Parent Loop BB3_12 Depth=1
                                        ; =>  This Loop Header: Depth=2
                                        ;       Child Loop BB3_43 Depth 3
                                        ;         Child Loop BB3_46 Depth 4
                                        ;           Child Loop BB3_48 Depth 5
	v_or_b32_e64 v8, 0, s23
	v_mov_b32_e32 v7, v3
	s_delay_alu instid0(VALU_DEP_1) | instskip(SKIP_1) | instid1(SALU_CYCLE_1)
	v_cmp_ne_u64_e32 vcc_lo, 0, v[7:8]
                                        ; implicit-def: $vgpr7_vgpr8
	s_and_saveexec_b32 s3, vcc_lo
	s_xor_b32 s42, exec_lo, s3
	s_cbranch_execz .LBB3_29
; %bb.28:                               ;   in Loop: Header=BB3_27 Depth=2
	s_add_u32 s14, s34, s23
	s_mov_b32 s4, s23
	s_mov_b32 s5, s23
	s_addc_u32 s15, s23, s23
	s_delay_alu instid0(SALU_CYCLE_1) | instskip(NEXT) | instid1(SALU_CYCLE_1)
	s_xor_b64 s[14:15], s[14:15], s[4:5]
	v_cvt_f32_u32_e32 v7, s14
	v_cvt_f32_u32_e32 v8, s15
	s_sub_u32 s3, 0, s14
	s_subb_u32 s43, 0, s15
	s_delay_alu instid0(VALU_DEP_1) | instskip(NEXT) | instid1(VALU_DEP_1)
	v_fmac_f32_e32 v7, 0x4f800000, v8
	v_rcp_f32_e32 v7, v7
	s_waitcnt_depctr 0xfff
	v_mul_f32_e32 v7, 0x5f7ffffc, v7
	s_delay_alu instid0(VALU_DEP_1) | instskip(NEXT) | instid1(VALU_DEP_1)
	v_mul_f32_e32 v8, 0x2f800000, v7
	v_trunc_f32_e32 v8, v8
	s_delay_alu instid0(VALU_DEP_1) | instskip(SKIP_1) | instid1(VALU_DEP_2)
	v_fmac_f32_e32 v7, 0xcf800000, v8
	v_cvt_u32_f32_e32 v8, v8
	v_cvt_u32_f32_e32 v7, v7
	s_delay_alu instid0(VALU_DEP_2) | instskip(NEXT) | instid1(VALU_DEP_2)
	v_mul_lo_u32 v9, s3, v8
	v_mul_hi_u32 v10, s3, v7
	v_mul_lo_u32 v11, s43, v7
	s_delay_alu instid0(VALU_DEP_2) | instskip(SKIP_1) | instid1(VALU_DEP_2)
	v_add_nc_u32_e32 v9, v10, v9
	v_mul_lo_u32 v10, s3, v7
	v_add_nc_u32_e32 v9, v9, v11
	s_delay_alu instid0(VALU_DEP_2) | instskip(NEXT) | instid1(VALU_DEP_2)
	v_mul_hi_u32 v11, v7, v10
	v_mul_lo_u32 v12, v7, v9
	v_mul_hi_u32 v13, v7, v9
	v_mul_hi_u32 v14, v8, v10
	v_mul_lo_u32 v10, v8, v10
	v_mul_hi_u32 v15, v8, v9
	v_mul_lo_u32 v9, v8, v9
	v_add_co_u32 v11, vcc_lo, v11, v12
	v_add_co_ci_u32_e32 v12, vcc_lo, 0, v13, vcc_lo
	s_delay_alu instid0(VALU_DEP_2) | instskip(NEXT) | instid1(VALU_DEP_2)
	v_add_co_u32 v10, vcc_lo, v11, v10
	v_add_co_ci_u32_e32 v10, vcc_lo, v12, v14, vcc_lo
	v_add_co_ci_u32_e32 v11, vcc_lo, 0, v15, vcc_lo
	v_ashrrev_i32_e64 v14, 31, 0
	s_delay_alu instid0(VALU_DEP_3) | instskip(NEXT) | instid1(VALU_DEP_3)
	v_add_co_u32 v9, vcc_lo, v10, v9
	v_add_co_ci_u32_e32 v10, vcc_lo, 0, v11, vcc_lo
	s_delay_alu instid0(VALU_DEP_2) | instskip(NEXT) | instid1(VALU_DEP_2)
	v_add_co_u32 v7, vcc_lo, v7, v9
	v_add_co_ci_u32_e32 v8, vcc_lo, v8, v10, vcc_lo
	s_delay_alu instid0(VALU_DEP_2) | instskip(SKIP_1) | instid1(VALU_DEP_3)
	v_mul_hi_u32 v9, s3, v7
	v_mul_lo_u32 v11, s43, v7
	v_mul_lo_u32 v10, s3, v8
	s_delay_alu instid0(VALU_DEP_1) | instskip(SKIP_1) | instid1(VALU_DEP_2)
	v_add_nc_u32_e32 v9, v9, v10
	v_mul_lo_u32 v10, s3, v7
	v_add_nc_u32_e32 v9, v9, v11
	s_delay_alu instid0(VALU_DEP_2) | instskip(NEXT) | instid1(VALU_DEP_2)
	v_mul_hi_u32 v11, v7, v10
	v_mul_lo_u32 v12, v7, v9
	v_mul_hi_u32 v13, v7, v9
	v_mul_hi_u32 v15, v8, v10
	v_mul_lo_u32 v10, v8, v10
	v_mul_hi_u32 v25, v8, v9
	v_mul_lo_u32 v9, v8, v9
	v_add_co_u32 v11, vcc_lo, v11, v12
	v_add_co_ci_u32_e32 v12, vcc_lo, 0, v13, vcc_lo
	s_delay_alu instid0(VALU_DEP_2) | instskip(NEXT) | instid1(VALU_DEP_2)
	v_add_co_u32 v10, vcc_lo, v11, v10
	v_add_co_ci_u32_e32 v10, vcc_lo, v12, v15, vcc_lo
	v_add_co_ci_u32_e32 v11, vcc_lo, 0, v25, vcc_lo
	v_add_co_u32 v12, vcc_lo, v2, v14
	v_add_co_ci_u32_e32 v13, vcc_lo, 0, v14, vcc_lo
	s_delay_alu instid0(VALU_DEP_4) | instskip(NEXT) | instid1(VALU_DEP_4)
	v_add_co_u32 v9, vcc_lo, v10, v9
	v_add_co_ci_u32_e32 v10, vcc_lo, 0, v11, vcc_lo
	s_delay_alu instid0(VALU_DEP_4) | instskip(NEXT) | instid1(VALU_DEP_3)
	v_xor_b32_e32 v15, v12, v14
	v_add_co_u32 v11, vcc_lo, v7, v9
	s_delay_alu instid0(VALU_DEP_3) | instskip(SKIP_1) | instid1(VALU_DEP_3)
	v_add_co_ci_u32_e32 v25, vcc_lo, v8, v10, vcc_lo
	v_xor_b32_e32 v13, v13, v14
	v_mul_hi_u32 v26, v15, v11
	s_delay_alu instid0(VALU_DEP_3) | instskip(NEXT) | instid1(VALU_DEP_3)
	v_mad_u64_u32 v[7:8], null, v15, v25, 0
	v_mad_u64_u32 v[9:10], null, v13, v11, 0
	;; [unrolled: 1-line block ×3, first 2 shown]
	s_delay_alu instid0(VALU_DEP_3) | instskip(NEXT) | instid1(VALU_DEP_4)
	v_add_co_u32 v7, vcc_lo, v26, v7
	v_add_co_ci_u32_e32 v8, vcc_lo, 0, v8, vcc_lo
	s_delay_alu instid0(VALU_DEP_2) | instskip(NEXT) | instid1(VALU_DEP_2)
	v_add_co_u32 v7, vcc_lo, v7, v9
	v_add_co_ci_u32_e32 v7, vcc_lo, v8, v10, vcc_lo
	v_add_co_ci_u32_e32 v8, vcc_lo, 0, v12, vcc_lo
	s_delay_alu instid0(VALU_DEP_2) | instskip(NEXT) | instid1(VALU_DEP_2)
	v_add_co_u32 v9, vcc_lo, v7, v11
	v_add_co_ci_u32_e32 v10, vcc_lo, 0, v8, vcc_lo
	s_delay_alu instid0(VALU_DEP_2) | instskip(SKIP_1) | instid1(VALU_DEP_3)
	v_mul_lo_u32 v11, s15, v9
	v_mad_u64_u32 v[7:8], null, s14, v9, 0
	v_mul_lo_u32 v12, s14, v10
	s_delay_alu instid0(VALU_DEP_2) | instskip(NEXT) | instid1(VALU_DEP_2)
	v_sub_co_u32 v7, vcc_lo, v15, v7
	v_add3_u32 v8, v8, v12, v11
	s_delay_alu instid0(VALU_DEP_1) | instskip(NEXT) | instid1(VALU_DEP_1)
	v_sub_nc_u32_e32 v11, v13, v8
	v_subrev_co_ci_u32_e64 v11, s3, s15, v11, vcc_lo
	v_add_co_u32 v12, s3, v9, 2
	s_delay_alu instid0(VALU_DEP_1) | instskip(SKIP_3) | instid1(VALU_DEP_3)
	v_add_co_ci_u32_e64 v15, s3, 0, v10, s3
	v_sub_co_u32 v25, s3, v7, s14
	v_sub_co_ci_u32_e32 v8, vcc_lo, v13, v8, vcc_lo
	v_subrev_co_ci_u32_e64 v11, s3, 0, v11, s3
	v_cmp_le_u32_e32 vcc_lo, s14, v25
	s_delay_alu instid0(VALU_DEP_3) | instskip(SKIP_1) | instid1(VALU_DEP_4)
	v_cmp_eq_u32_e64 s3, s15, v8
	v_cndmask_b32_e64 v13, 0, -1, vcc_lo
	v_cmp_le_u32_e32 vcc_lo, s15, v11
	v_cndmask_b32_e64 v25, 0, -1, vcc_lo
	v_cmp_le_u32_e32 vcc_lo, s14, v7
	v_cndmask_b32_e64 v7, 0, -1, vcc_lo
	v_cmp_le_u32_e32 vcc_lo, s15, v8
	v_cndmask_b32_e64 v26, 0, -1, vcc_lo
	v_cmp_eq_u32_e32 vcc_lo, s15, v11
	s_delay_alu instid0(VALU_DEP_2) | instskip(SKIP_3) | instid1(VALU_DEP_3)
	v_cndmask_b32_e64 v7, v26, v7, s3
	v_cndmask_b32_e32 v11, v25, v13, vcc_lo
	v_add_co_u32 v13, vcc_lo, v9, 1
	v_add_co_ci_u32_e32 v25, vcc_lo, 0, v10, vcc_lo
	v_cmp_ne_u32_e32 vcc_lo, 0, v11
	s_delay_alu instid0(VALU_DEP_2) | instskip(NEXT) | instid1(VALU_DEP_4)
	v_cndmask_b32_e32 v8, v25, v15, vcc_lo
	v_cndmask_b32_e32 v11, v13, v12, vcc_lo
	v_cmp_ne_u32_e32 vcc_lo, 0, v7
	v_xor_b32_e32 v7, s4, v14
	s_delay_alu instid0(VALU_DEP_3) | instskip(SKIP_1) | instid1(VALU_DEP_2)
	v_dual_cndmask_b32 v9, v9, v11 :: v_dual_cndmask_b32 v8, v10, v8
	v_xor_b32_e32 v10, s5, v14
	v_xor_b32_e32 v9, v9, v7
	s_delay_alu instid0(VALU_DEP_2) | instskip(NEXT) | instid1(VALU_DEP_2)
	v_xor_b32_e32 v8, v8, v10
	v_sub_co_u32 v7, vcc_lo, v9, v7
	s_delay_alu instid0(VALU_DEP_2)
	v_sub_co_ci_u32_e32 v8, vcc_lo, v8, v10, vcc_lo
.LBB3_29:                               ;   in Loop: Header=BB3_27 Depth=2
	s_or_saveexec_b32 s3, s42
	v_cvt_f32_u32_e32 v14, s34
	s_xor_b32 exec_lo, exec_lo, s3
	s_cbranch_execz .LBB3_31
; %bb.30:                               ;   in Loop: Header=BB3_27 Depth=2
	s_delay_alu instid0(VALU_DEP_1) | instskip(SKIP_3) | instid1(VALU_DEP_1)
	v_rcp_iflag_f32_e32 v7, v14
	s_sub_i32 s4, 0, s34
	s_waitcnt_depctr 0xfff
	v_mul_f32_e32 v7, 0x4f7ffffe, v7
	v_cvt_u32_f32_e32 v7, v7
	s_delay_alu instid0(VALU_DEP_1) | instskip(NEXT) | instid1(VALU_DEP_1)
	v_mul_lo_u32 v8, s4, v7
	v_mul_hi_u32 v8, v7, v8
	s_delay_alu instid0(VALU_DEP_1) | instskip(NEXT) | instid1(VALU_DEP_1)
	v_add_nc_u32_e32 v7, v7, v8
	v_mul_hi_u32 v7, v2, v7
	s_delay_alu instid0(VALU_DEP_1) | instskip(SKIP_1) | instid1(VALU_DEP_2)
	v_mul_lo_u32 v8, v7, s34
	v_add_nc_u32_e32 v9, 1, v7
	v_sub_nc_u32_e32 v8, v2, v8
	s_delay_alu instid0(VALU_DEP_1) | instskip(SKIP_1) | instid1(VALU_DEP_2)
	v_subrev_nc_u32_e32 v10, s34, v8
	v_cmp_le_u32_e32 vcc_lo, s34, v8
	v_dual_cndmask_b32 v8, v8, v10 :: v_dual_cndmask_b32 v7, v7, v9
	s_delay_alu instid0(VALU_DEP_1) | instskip(NEXT) | instid1(VALU_DEP_2)
	v_cmp_le_u32_e32 vcc_lo, s34, v8
	v_dual_mov_b32 v8, v3 :: v_dual_add_nc_u32 v9, 1, v7
	s_delay_alu instid0(VALU_DEP_1)
	v_cndmask_b32_e32 v7, v7, v9, vcc_lo
.LBB3_31:                               ;   in Loop: Header=BB3_27 Depth=2
	s_or_b32 exec_lo, exec_lo, s3
	s_delay_alu instid0(VALU_DEP_2) | instskip(NEXT) | instid1(VALU_DEP_2)
	v_mul_lo_u32 v10, v8, s34
	v_mul_lo_u32 v11, v7, s23
	v_mad_u64_u32 v[8:9], null, v7, s34, 0
	s_delay_alu instid0(VALU_DEP_1) | instskip(NEXT) | instid1(VALU_DEP_2)
	v_add3_u32 v9, v9, v11, v10
	v_sub_co_u32 v8, vcc_lo, v2, v8
	s_delay_alu instid0(VALU_DEP_2) | instskip(NEXT) | instid1(VALU_DEP_2)
	v_sub_co_ci_u32_e32 v9, vcc_lo, 0, v9, vcc_lo
	v_mul_lo_u32 v12, v8, s26
	v_mad_u64_u32 v[10:11], null, v8, s18, 0
	s_delay_alu instid0(VALU_DEP_3) | instskip(NEXT) | instid1(VALU_DEP_1)
	v_mul_lo_u32 v8, v9, s18
	v_add3_u32 v11, v11, v12, v8
	v_mov_b32_e32 v8, v3
	s_delay_alu instid0(VALU_DEP_2) | instskip(NEXT) | instid1(VALU_DEP_1)
	v_or_b32_e32 v9, s23, v11
	v_cmp_ne_u64_e32 vcc_lo, 0, v[8:9]
                                        ; implicit-def: $vgpr8_vgpr9
	s_and_saveexec_b32 s3, vcc_lo
	s_delay_alu instid0(SALU_CYCLE_1)
	s_xor_b32 s42, exec_lo, s3
	s_cbranch_execz .LBB3_33
; %bb.32:                               ;   in Loop: Header=BB3_27 Depth=2
	s_add_u32 s14, s34, s23
	s_mov_b32 s4, s23
	s_mov_b32 s5, s23
	s_addc_u32 s15, s23, s23
	s_delay_alu instid0(SALU_CYCLE_1) | instskip(NEXT) | instid1(SALU_CYCLE_1)
	s_xor_b64 s[14:15], s[14:15], s[4:5]
	v_cvt_f32_u32_e32 v8, s14
	v_cvt_f32_u32_e32 v9, s15
	s_sub_u32 s3, 0, s14
	s_subb_u32 s43, 0, s15
	s_delay_alu instid0(VALU_DEP_1) | instskip(NEXT) | instid1(VALU_DEP_1)
	v_fmac_f32_e32 v8, 0x4f800000, v9
	v_rcp_f32_e32 v8, v8
	s_waitcnt_depctr 0xfff
	v_mul_f32_e32 v8, 0x5f7ffffc, v8
	s_delay_alu instid0(VALU_DEP_1) | instskip(NEXT) | instid1(VALU_DEP_1)
	v_mul_f32_e32 v9, 0x2f800000, v8
	v_trunc_f32_e32 v9, v9
	s_delay_alu instid0(VALU_DEP_1) | instskip(SKIP_1) | instid1(VALU_DEP_2)
	v_fmac_f32_e32 v8, 0xcf800000, v9
	v_cvt_u32_f32_e32 v9, v9
	v_cvt_u32_f32_e32 v8, v8
	s_delay_alu instid0(VALU_DEP_2) | instskip(NEXT) | instid1(VALU_DEP_2)
	v_mul_lo_u32 v12, s3, v9
	v_mul_hi_u32 v13, s3, v8
	v_mul_lo_u32 v15, s43, v8
	s_delay_alu instid0(VALU_DEP_2) | instskip(SKIP_1) | instid1(VALU_DEP_2)
	v_add_nc_u32_e32 v12, v13, v12
	v_mul_lo_u32 v13, s3, v8
	v_add_nc_u32_e32 v12, v12, v15
	s_delay_alu instid0(VALU_DEP_2) | instskip(NEXT) | instid1(VALU_DEP_2)
	v_mul_hi_u32 v15, v8, v13
	v_mul_lo_u32 v25, v8, v12
	v_mul_hi_u32 v26, v8, v12
	v_mul_hi_u32 v27, v9, v13
	v_mul_lo_u32 v13, v9, v13
	v_mul_hi_u32 v28, v9, v12
	v_mul_lo_u32 v12, v9, v12
	v_add_co_u32 v15, vcc_lo, v15, v25
	v_add_co_ci_u32_e32 v25, vcc_lo, 0, v26, vcc_lo
	s_delay_alu instid0(VALU_DEP_2) | instskip(NEXT) | instid1(VALU_DEP_2)
	v_add_co_u32 v13, vcc_lo, v15, v13
	v_add_co_ci_u32_e32 v13, vcc_lo, v25, v27, vcc_lo
	v_add_co_ci_u32_e32 v15, vcc_lo, 0, v28, vcc_lo
	v_ashrrev_i32_e32 v27, 31, v11
	s_delay_alu instid0(VALU_DEP_3) | instskip(NEXT) | instid1(VALU_DEP_3)
	v_add_co_u32 v12, vcc_lo, v13, v12
	v_add_co_ci_u32_e32 v13, vcc_lo, 0, v15, vcc_lo
	s_delay_alu instid0(VALU_DEP_2) | instskip(NEXT) | instid1(VALU_DEP_2)
	v_add_co_u32 v8, vcc_lo, v8, v12
	v_add_co_ci_u32_e32 v9, vcc_lo, v9, v13, vcc_lo
	s_delay_alu instid0(VALU_DEP_2) | instskip(SKIP_1) | instid1(VALU_DEP_3)
	v_mul_hi_u32 v12, s3, v8
	v_mul_lo_u32 v15, s43, v8
	v_mul_lo_u32 v13, s3, v9
	s_delay_alu instid0(VALU_DEP_1) | instskip(SKIP_1) | instid1(VALU_DEP_2)
	v_add_nc_u32_e32 v12, v12, v13
	v_mul_lo_u32 v13, s3, v8
	v_add_nc_u32_e32 v12, v12, v15
	s_delay_alu instid0(VALU_DEP_2) | instskip(NEXT) | instid1(VALU_DEP_2)
	v_mul_hi_u32 v15, v8, v13
	v_mul_lo_u32 v25, v8, v12
	v_mul_hi_u32 v26, v8, v12
	v_mul_hi_u32 v28, v9, v13
	v_mul_lo_u32 v13, v9, v13
	v_mul_hi_u32 v29, v9, v12
	v_mul_lo_u32 v12, v9, v12
	v_add_co_u32 v15, vcc_lo, v15, v25
	v_add_co_ci_u32_e32 v25, vcc_lo, 0, v26, vcc_lo
	s_delay_alu instid0(VALU_DEP_2) | instskip(NEXT) | instid1(VALU_DEP_2)
	v_add_co_u32 v13, vcc_lo, v15, v13
	v_add_co_ci_u32_e32 v13, vcc_lo, v25, v28, vcc_lo
	v_add_co_ci_u32_e32 v15, vcc_lo, 0, v29, vcc_lo
	v_add_co_u32 v10, vcc_lo, v10, v27
	v_add_co_ci_u32_e32 v11, vcc_lo, v11, v27, vcc_lo
	s_delay_alu instid0(VALU_DEP_4) | instskip(NEXT) | instid1(VALU_DEP_4)
	v_add_co_u32 v12, vcc_lo, v13, v12
	v_add_co_ci_u32_e32 v13, vcc_lo, 0, v15, vcc_lo
	s_delay_alu instid0(VALU_DEP_4) | instskip(NEXT) | instid1(VALU_DEP_3)
	v_xor_b32_e32 v15, v10, v27
	v_add_co_u32 v12, vcc_lo, v8, v12
	s_delay_alu instid0(VALU_DEP_3) | instskip(SKIP_1) | instid1(VALU_DEP_3)
	v_add_co_ci_u32_e32 v25, vcc_lo, v9, v13, vcc_lo
	v_xor_b32_e32 v26, v11, v27
	v_mul_hi_u32 v28, v15, v12
	s_delay_alu instid0(VALU_DEP_3) | instskip(NEXT) | instid1(VALU_DEP_3)
	v_mad_u64_u32 v[8:9], null, v15, v25, 0
	v_mad_u64_u32 v[10:11], null, v26, v12, 0
	;; [unrolled: 1-line block ×3, first 2 shown]
	s_delay_alu instid0(VALU_DEP_3) | instskip(NEXT) | instid1(VALU_DEP_4)
	v_add_co_u32 v8, vcc_lo, v28, v8
	v_add_co_ci_u32_e32 v9, vcc_lo, 0, v9, vcc_lo
	s_delay_alu instid0(VALU_DEP_2) | instskip(NEXT) | instid1(VALU_DEP_2)
	v_add_co_u32 v8, vcc_lo, v8, v10
	v_add_co_ci_u32_e32 v8, vcc_lo, v9, v11, vcc_lo
	v_add_co_ci_u32_e32 v9, vcc_lo, 0, v13, vcc_lo
	s_delay_alu instid0(VALU_DEP_2) | instskip(NEXT) | instid1(VALU_DEP_2)
	v_add_co_u32 v10, vcc_lo, v8, v12
	v_add_co_ci_u32_e32 v11, vcc_lo, 0, v9, vcc_lo
	s_delay_alu instid0(VALU_DEP_2) | instskip(SKIP_1) | instid1(VALU_DEP_3)
	v_mul_lo_u32 v12, s15, v10
	v_mad_u64_u32 v[8:9], null, s14, v10, 0
	v_mul_lo_u32 v13, s14, v11
	s_delay_alu instid0(VALU_DEP_2) | instskip(NEXT) | instid1(VALU_DEP_2)
	v_sub_co_u32 v8, vcc_lo, v15, v8
	v_add3_u32 v9, v9, v13, v12
	s_delay_alu instid0(VALU_DEP_1) | instskip(NEXT) | instid1(VALU_DEP_1)
	v_sub_nc_u32_e32 v12, v26, v9
	v_subrev_co_ci_u32_e64 v12, s3, s15, v12, vcc_lo
	v_add_co_u32 v13, s3, v10, 2
	s_delay_alu instid0(VALU_DEP_1) | instskip(SKIP_3) | instid1(VALU_DEP_3)
	v_add_co_ci_u32_e64 v15, s3, 0, v11, s3
	v_sub_co_u32 v25, s3, v8, s14
	v_sub_co_ci_u32_e32 v9, vcc_lo, v26, v9, vcc_lo
	v_subrev_co_ci_u32_e64 v12, s3, 0, v12, s3
	v_cmp_le_u32_e32 vcc_lo, s14, v25
	s_delay_alu instid0(VALU_DEP_3) | instskip(SKIP_1) | instid1(VALU_DEP_4)
	v_cmp_eq_u32_e64 s3, s15, v9
	v_cndmask_b32_e64 v25, 0, -1, vcc_lo
	v_cmp_le_u32_e32 vcc_lo, s15, v12
	v_cndmask_b32_e64 v26, 0, -1, vcc_lo
	v_cmp_le_u32_e32 vcc_lo, s14, v8
	;; [unrolled: 2-line block ×3, first 2 shown]
	v_cndmask_b32_e64 v28, 0, -1, vcc_lo
	v_cmp_eq_u32_e32 vcc_lo, s15, v12
	s_delay_alu instid0(VALU_DEP_2) | instskip(SKIP_3) | instid1(VALU_DEP_3)
	v_cndmask_b32_e64 v8, v28, v8, s3
	v_cndmask_b32_e32 v12, v26, v25, vcc_lo
	v_add_co_u32 v25, vcc_lo, v10, 1
	v_add_co_ci_u32_e32 v26, vcc_lo, 0, v11, vcc_lo
	v_cmp_ne_u32_e32 vcc_lo, 0, v12
	s_delay_alu instid0(VALU_DEP_2) | instskip(SKIP_2) | instid1(VALU_DEP_3)
	v_dual_cndmask_b32 v9, v26, v15 :: v_dual_cndmask_b32 v12, v25, v13
	v_cmp_ne_u32_e32 vcc_lo, 0, v8
	v_xor_b32_e32 v8, s4, v27
	v_dual_cndmask_b32 v10, v10, v12 :: v_dual_cndmask_b32 v9, v11, v9
	v_xor_b32_e32 v11, s5, v27
	s_delay_alu instid0(VALU_DEP_2) | instskip(NEXT) | instid1(VALU_DEP_2)
	v_xor_b32_e32 v10, v10, v8
	v_xor_b32_e32 v9, v9, v11
	s_delay_alu instid0(VALU_DEP_2) | instskip(NEXT) | instid1(VALU_DEP_2)
	v_sub_co_u32 v8, vcc_lo, v10, v8
	v_sub_co_ci_u32_e32 v9, vcc_lo, v9, v11, vcc_lo
                                        ; implicit-def: $vgpr10_vgpr11
.LBB3_33:                               ;   in Loop: Header=BB3_27 Depth=2
	s_and_not1_saveexec_b32 s3, s42
	s_cbranch_execz .LBB3_35
; %bb.34:                               ;   in Loop: Header=BB3_27 Depth=2
	v_rcp_iflag_f32_e32 v8, v14
	s_sub_i32 s4, 0, s34
	s_waitcnt_depctr 0xfff
	v_mul_f32_e32 v8, 0x4f7ffffe, v8
	s_delay_alu instid0(VALU_DEP_1) | instskip(NEXT) | instid1(VALU_DEP_1)
	v_cvt_u32_f32_e32 v8, v8
	v_mul_lo_u32 v9, s4, v8
	s_delay_alu instid0(VALU_DEP_1) | instskip(NEXT) | instid1(VALU_DEP_1)
	v_mul_hi_u32 v9, v8, v9
	v_add_nc_u32_e32 v8, v8, v9
	s_delay_alu instid0(VALU_DEP_1) | instskip(NEXT) | instid1(VALU_DEP_1)
	v_mul_hi_u32 v8, v10, v8
	v_mul_lo_u32 v9, v8, s34
	s_delay_alu instid0(VALU_DEP_1) | instskip(SKIP_1) | instid1(VALU_DEP_2)
	v_sub_nc_u32_e32 v9, v10, v9
	v_add_nc_u32_e32 v10, 1, v8
	v_subrev_nc_u32_e32 v11, s34, v9
	v_cmp_le_u32_e32 vcc_lo, s34, v9
	s_delay_alu instid0(VALU_DEP_2) | instskip(NEXT) | instid1(VALU_DEP_1)
	v_dual_cndmask_b32 v9, v9, v11 :: v_dual_cndmask_b32 v8, v8, v10
	v_cmp_le_u32_e32 vcc_lo, s34, v9
	s_delay_alu instid0(VALU_DEP_2) | instskip(NEXT) | instid1(VALU_DEP_1)
	v_dual_mov_b32 v9, v3 :: v_dual_add_nc_u32 v10, 1, v8
	v_cndmask_b32_e32 v8, v8, v10, vcc_lo
.LBB3_35:                               ;   in Loop: Header=BB3_27 Depth=2
	s_or_b32 exec_lo, exec_lo, s3
	v_add_co_u32 v12, s3, v2, 1
	s_delay_alu instid0(VALU_DEP_1) | instskip(NEXT) | instid1(VALU_DEP_2)
	v_add_co_ci_u32_e64 v10, null, 0, 0, s3
	v_mul_lo_u32 v13, v12, s26
	s_delay_alu instid0(VALU_DEP_2) | instskip(SKIP_2) | instid1(VALU_DEP_2)
	v_mul_lo_u32 v15, v10, s18
	v_mad_u64_u32 v[10:11], null, v12, s18, -1
	v_mov_b32_e32 v12, v3
	v_add3_u32 v11, v15, v11, v13
	s_delay_alu instid0(VALU_DEP_1) | instskip(NEXT) | instid1(VALU_DEP_1)
	v_or_b32_e32 v13, s23, v11
	v_cmp_ne_u64_e32 vcc_lo, 0, v[12:13]
                                        ; implicit-def: $vgpr12_vgpr13
	s_and_saveexec_b32 s3, vcc_lo
	s_delay_alu instid0(SALU_CYCLE_1)
	s_xor_b32 s42, exec_lo, s3
	s_cbranch_execz .LBB3_37
; %bb.36:                               ;   in Loop: Header=BB3_27 Depth=2
	s_add_u32 s14, s34, s23
	s_mov_b32 s4, s23
	s_mov_b32 s5, s23
	s_addc_u32 s15, s23, s23
	s_delay_alu instid0(SALU_CYCLE_1) | instskip(NEXT) | instid1(SALU_CYCLE_1)
	s_xor_b64 s[14:15], s[14:15], s[4:5]
	v_cvt_f32_u32_e32 v12, s14
	v_cvt_f32_u32_e32 v13, s15
	s_sub_u32 s3, 0, s14
	s_subb_u32 s5, 0, s15
	s_delay_alu instid0(VALU_DEP_1) | instskip(NEXT) | instid1(VALU_DEP_1)
	v_fmac_f32_e32 v12, 0x4f800000, v13
	v_rcp_f32_e32 v12, v12
	s_waitcnt_depctr 0xfff
	v_mul_f32_e32 v12, 0x5f7ffffc, v12
	s_delay_alu instid0(VALU_DEP_1) | instskip(NEXT) | instid1(VALU_DEP_1)
	v_mul_f32_e32 v13, 0x2f800000, v12
	v_trunc_f32_e32 v13, v13
	s_delay_alu instid0(VALU_DEP_1) | instskip(SKIP_1) | instid1(VALU_DEP_2)
	v_fmac_f32_e32 v12, 0xcf800000, v13
	v_cvt_u32_f32_e32 v13, v13
	v_cvt_u32_f32_e32 v12, v12
	s_delay_alu instid0(VALU_DEP_2) | instskip(NEXT) | instid1(VALU_DEP_2)
	v_mul_lo_u32 v14, s3, v13
	v_mul_hi_u32 v15, s3, v12
	v_mul_lo_u32 v25, s5, v12
	s_delay_alu instid0(VALU_DEP_2) | instskip(SKIP_1) | instid1(VALU_DEP_2)
	v_add_nc_u32_e32 v14, v15, v14
	v_mul_lo_u32 v15, s3, v12
	v_add_nc_u32_e32 v14, v14, v25
	s_delay_alu instid0(VALU_DEP_2) | instskip(NEXT) | instid1(VALU_DEP_2)
	v_mul_hi_u32 v25, v12, v15
	v_mul_lo_u32 v26, v12, v14
	v_mul_hi_u32 v27, v12, v14
	v_mul_hi_u32 v28, v13, v15
	v_mul_lo_u32 v15, v13, v15
	v_mul_hi_u32 v29, v13, v14
	v_mul_lo_u32 v14, v13, v14
	v_add_co_u32 v25, vcc_lo, v25, v26
	v_add_co_ci_u32_e32 v26, vcc_lo, 0, v27, vcc_lo
	s_delay_alu instid0(VALU_DEP_2) | instskip(NEXT) | instid1(VALU_DEP_2)
	v_add_co_u32 v15, vcc_lo, v25, v15
	v_add_co_ci_u32_e32 v15, vcc_lo, v26, v28, vcc_lo
	v_add_co_ci_u32_e32 v25, vcc_lo, 0, v29, vcc_lo
	v_ashrrev_i32_e32 v28, 31, v11
	s_delay_alu instid0(VALU_DEP_3) | instskip(NEXT) | instid1(VALU_DEP_3)
	v_add_co_u32 v14, vcc_lo, v15, v14
	v_add_co_ci_u32_e32 v15, vcc_lo, 0, v25, vcc_lo
	s_delay_alu instid0(VALU_DEP_2) | instskip(NEXT) | instid1(VALU_DEP_2)
	v_add_co_u32 v12, vcc_lo, v12, v14
	v_add_co_ci_u32_e32 v13, vcc_lo, v13, v15, vcc_lo
	s_delay_alu instid0(VALU_DEP_2) | instskip(SKIP_1) | instid1(VALU_DEP_3)
	v_mul_hi_u32 v14, s3, v12
	v_mul_lo_u32 v25, s5, v12
	v_mul_lo_u32 v15, s3, v13
	s_delay_alu instid0(VALU_DEP_1) | instskip(SKIP_1) | instid1(VALU_DEP_2)
	v_add_nc_u32_e32 v14, v14, v15
	v_mul_lo_u32 v15, s3, v12
	v_add_nc_u32_e32 v14, v14, v25
	s_delay_alu instid0(VALU_DEP_2) | instskip(NEXT) | instid1(VALU_DEP_2)
	v_mul_hi_u32 v25, v12, v15
	v_mul_lo_u32 v26, v12, v14
	v_mul_hi_u32 v27, v12, v14
	v_mul_hi_u32 v29, v13, v15
	v_mul_lo_u32 v15, v13, v15
	v_mul_hi_u32 v30, v13, v14
	v_mul_lo_u32 v14, v13, v14
	v_add_co_u32 v25, vcc_lo, v25, v26
	v_add_co_ci_u32_e32 v26, vcc_lo, 0, v27, vcc_lo
	s_delay_alu instid0(VALU_DEP_2) | instskip(NEXT) | instid1(VALU_DEP_2)
	v_add_co_u32 v15, vcc_lo, v25, v15
	v_add_co_ci_u32_e32 v15, vcc_lo, v26, v29, vcc_lo
	v_add_co_ci_u32_e32 v25, vcc_lo, 0, v30, vcc_lo
	v_add_co_u32 v10, vcc_lo, v10, v28
	v_add_co_ci_u32_e32 v11, vcc_lo, v11, v28, vcc_lo
	s_delay_alu instid0(VALU_DEP_4) | instskip(NEXT) | instid1(VALU_DEP_4)
	v_add_co_u32 v14, vcc_lo, v15, v14
	v_add_co_ci_u32_e32 v15, vcc_lo, 0, v25, vcc_lo
	s_delay_alu instid0(VALU_DEP_4) | instskip(NEXT) | instid1(VALU_DEP_3)
	v_xor_b32_e32 v25, v10, v28
	v_add_co_u32 v14, vcc_lo, v12, v14
	s_delay_alu instid0(VALU_DEP_3) | instskip(SKIP_1) | instid1(VALU_DEP_3)
	v_add_co_ci_u32_e32 v26, vcc_lo, v13, v15, vcc_lo
	v_xor_b32_e32 v27, v11, v28
	v_mul_hi_u32 v29, v25, v14
	s_delay_alu instid0(VALU_DEP_3) | instskip(NEXT) | instid1(VALU_DEP_3)
	v_mad_u64_u32 v[10:11], null, v25, v26, 0
	v_mad_u64_u32 v[12:13], null, v27, v14, 0
	;; [unrolled: 1-line block ×3, first 2 shown]
	s_delay_alu instid0(VALU_DEP_3) | instskip(NEXT) | instid1(VALU_DEP_4)
	v_add_co_u32 v10, vcc_lo, v29, v10
	v_add_co_ci_u32_e32 v11, vcc_lo, 0, v11, vcc_lo
	s_delay_alu instid0(VALU_DEP_2) | instskip(NEXT) | instid1(VALU_DEP_2)
	v_add_co_u32 v10, vcc_lo, v10, v12
	v_add_co_ci_u32_e32 v10, vcc_lo, v11, v13, vcc_lo
	v_add_co_ci_u32_e32 v11, vcc_lo, 0, v15, vcc_lo
	s_delay_alu instid0(VALU_DEP_2) | instskip(NEXT) | instid1(VALU_DEP_2)
	v_add_co_u32 v12, vcc_lo, v10, v14
	v_add_co_ci_u32_e32 v13, vcc_lo, 0, v11, vcc_lo
	s_delay_alu instid0(VALU_DEP_2) | instskip(SKIP_1) | instid1(VALU_DEP_3)
	v_mul_lo_u32 v14, s15, v12
	v_mad_u64_u32 v[10:11], null, s14, v12, 0
	v_mul_lo_u32 v13, s14, v13
	s_delay_alu instid0(VALU_DEP_2) | instskip(NEXT) | instid1(VALU_DEP_2)
	v_sub_co_u32 v10, vcc_lo, v25, v10
	v_add3_u32 v11, v11, v13, v14
	v_add_co_u32 v14, s3, v12, 2
	s_delay_alu instid0(VALU_DEP_2) | instskip(NEXT) | instid1(VALU_DEP_1)
	v_sub_nc_u32_e32 v13, v27, v11
	v_subrev_co_ci_u32_e64 v13, s3, s15, v13, vcc_lo
	v_sub_co_u32 v15, s3, v10, s14
	v_sub_co_ci_u32_e32 v11, vcc_lo, v27, v11, vcc_lo
	s_delay_alu instid0(VALU_DEP_3) | instskip(NEXT) | instid1(VALU_DEP_3)
	v_subrev_co_ci_u32_e64 v13, s3, 0, v13, s3
	v_cmp_le_u32_e32 vcc_lo, s14, v15
	v_cndmask_b32_e64 v15, 0, -1, vcc_lo
	s_delay_alu instid0(VALU_DEP_3)
	v_cmp_le_u32_e32 vcc_lo, s15, v13
	v_cndmask_b32_e64 v25, 0, -1, vcc_lo
	v_cmp_le_u32_e32 vcc_lo, s14, v10
	v_cndmask_b32_e64 v10, 0, -1, vcc_lo
	;; [unrolled: 2-line block ×3, first 2 shown]
	v_cmp_eq_u32_e32 vcc_lo, s15, v13
	v_cndmask_b32_e32 v13, v25, v15, vcc_lo
	v_add_co_u32 v15, vcc_lo, v12, 1
	v_cmp_eq_u32_e32 vcc_lo, s15, v11
	v_cndmask_b32_e32 v10, v26, v10, vcc_lo
	s_delay_alu instid0(VALU_DEP_4) | instskip(NEXT) | instid1(VALU_DEP_4)
	v_cmp_ne_u32_e32 vcc_lo, 0, v13
	v_cndmask_b32_e32 v11, v15, v14, vcc_lo
	s_delay_alu instid0(VALU_DEP_3) | instskip(NEXT) | instid1(VALU_DEP_2)
	v_cmp_ne_u32_e32 vcc_lo, 0, v10
                                        ; implicit-def: $vgpr14
	v_cndmask_b32_e32 v10, v12, v11, vcc_lo
	v_xor_b32_e32 v11, s4, v28
	s_delay_alu instid0(VALU_DEP_1) | instskip(NEXT) | instid1(VALU_DEP_1)
	v_xor_b32_e32 v10, v10, v11
	v_sub_co_u32 v12, vcc_lo, v10, v11
                                        ; implicit-def: $vgpr10_vgpr11
.LBB3_37:                               ;   in Loop: Header=BB3_27 Depth=2
	s_and_not1_saveexec_b32 s3, s42
	s_cbranch_execz .LBB3_39
; %bb.38:                               ;   in Loop: Header=BB3_27 Depth=2
	v_rcp_iflag_f32_e32 v11, v14
	s_sub_i32 s4, 0, s34
	s_waitcnt_depctr 0xfff
	v_mul_f32_e32 v11, 0x4f7ffffe, v11
	s_delay_alu instid0(VALU_DEP_1) | instskip(NEXT) | instid1(VALU_DEP_1)
	v_cvt_u32_f32_e32 v11, v11
	v_mul_lo_u32 v12, s4, v11
	s_delay_alu instid0(VALU_DEP_1) | instskip(NEXT) | instid1(VALU_DEP_1)
	v_mul_hi_u32 v12, v11, v12
	v_add_nc_u32_e32 v11, v11, v12
	s_delay_alu instid0(VALU_DEP_1) | instskip(NEXT) | instid1(VALU_DEP_1)
	v_mul_hi_u32 v11, v10, v11
	v_mul_lo_u32 v12, v11, s34
	s_delay_alu instid0(VALU_DEP_1) | instskip(SKIP_1) | instid1(VALU_DEP_2)
	v_sub_nc_u32_e32 v10, v10, v12
	v_add_nc_u32_e32 v12, 1, v11
	v_subrev_nc_u32_e32 v13, s34, v10
	v_cmp_le_u32_e32 vcc_lo, s34, v10
	s_delay_alu instid0(VALU_DEP_2) | instskip(NEXT) | instid1(VALU_DEP_1)
	v_dual_cndmask_b32 v10, v10, v13 :: v_dual_cndmask_b32 v11, v11, v12
	v_cmp_le_u32_e32 vcc_lo, s34, v10
	s_delay_alu instid0(VALU_DEP_2) | instskip(NEXT) | instid1(VALU_DEP_1)
	v_add_nc_u32_e32 v12, 1, v11
	v_cndmask_b32_e32 v12, v11, v12, vcc_lo
.LBB3_39:                               ;   in Loop: Header=BB3_27 Depth=2
	s_or_b32 exec_lo, exec_lo, s3
	v_mad_u64_u32 v[13:14], null, v7, s18, v[8:9]
	v_mov_b32_e32 v25, 0xffffff80
	s_and_not1_b32 vcc_lo, exec_lo, s1
	s_delay_alu instid0(VALU_DEP_2) | instskip(NEXT) | instid1(VALU_DEP_1)
	v_add_nc_u32_e32 v9, v24, v13
	v_ashrrev_i32_e32 v10, 31, v9
	s_cbranch_vccnz .LBB3_26
; %bb.40:                               ;   in Loop: Header=BB3_27 Depth=2
	v_ashrrev_i32_e32 v14, 31, v13
	v_sub_nc_u32_e32 v15, v12, v13
	v_mad_u64_u32 v[11:12], null, s10, v13, v[4:5]
	v_mul_lo_u32 v25, s11, v13
	s_delay_alu instid0(VALU_DEP_4) | instskip(SKIP_3) | instid1(VALU_DEP_2)
	v_mul_lo_u32 v27, s10, v14
	v_add_nc_u32_e32 v7, v6, v7
	v_add_nc_u32_e32 v26, 1, v15
	s_mov_b32 s14, 0
	v_mad_u64_u32 v[13:14], null, s18, v7, v[8:9]
	s_delay_alu instid0(VALU_DEP_4)
	v_add3_u32 v12, v25, v12, v27
	v_mov_b32_e32 v25, 0xffffff80
	v_cmp_lt_i32_e64 s3, 0, v26
	s_branch .LBB3_43
.LBB3_41:                               ;   in Loop: Header=BB3_43 Depth=3
	s_set_inst_prefetch_distance 0x2
	s_or_b32 exec_lo, exec_lo, s42
.LBB3_42:                               ;   in Loop: Header=BB3_43 Depth=3
	s_delay_alu instid0(SALU_CYCLE_1)
	s_or_b32 exec_lo, exec_lo, s15
	s_add_i32 s14, s14, 1
	v_add_co_u32 v11, s4, v11, s6
	v_cmp_ne_u32_e32 vcc_lo, s14, v16
	v_add_co_ci_u32_e64 v12, s4, s7, v12, s4
	v_add_nc_u32_e32 v13, s38, v13
	s_cbranch_vccz .LBB3_26
.LBB3_43:                               ;   Parent Loop BB3_12 Depth=1
                                        ;     Parent Loop BB3_27 Depth=2
                                        ; =>    This Loop Header: Depth=3
                                        ;         Child Loop BB3_46 Depth 4
                                        ;           Child Loop BB3_48 Depth 5
	s_and_saveexec_b32 s15, s2
	s_cbranch_execz .LBB3_42
; %bb.44:                               ;   in Loop: Header=BB3_43 Depth=3
	v_mov_b32_e32 v7, v11
	v_dual_mov_b32 v27, v13 :: v_dual_mov_b32 v8, v12
	s_mov_b32 s42, 0
	s_mov_b32 s43, 0
	s_set_inst_prefetch_distance 0x1
	s_branch .LBB3_46
	.p2align	6
.LBB3_45:                               ;   in Loop: Header=BB3_46 Depth=4
	s_or_b32 exec_lo, exec_lo, s44
	s_add_i32 s43, s43, 1
	v_add_co_u32 v7, s4, v7, s8
	v_cmp_ge_i32_e32 vcc_lo, s43, v19
	v_add_co_ci_u32_e64 v8, s4, s9, v8, s4
	v_add_nc_u32_e32 v27, s18, v27
	s_or_b32 s42, vcc_lo, s42
	s_delay_alu instid0(SALU_CYCLE_1)
	s_and_not1_b32 exec_lo, exec_lo, s42
	s_cbranch_execz .LBB3_41
.LBB3_46:                               ;   Parent Loop BB3_12 Depth=1
                                        ;     Parent Loop BB3_27 Depth=2
                                        ;       Parent Loop BB3_43 Depth=3
                                        ; =>      This Loop Header: Depth=4
                                        ;           Child Loop BB3_48 Depth 5
	s_and_saveexec_b32 s44, s3
	s_cbranch_execz .LBB3_45
; %bb.47:                               ;   in Loop: Header=BB3_46 Depth=4
	v_dual_mov_b32 v15, v8 :: v_dual_mov_b32 v14, v7
	s_mov_b32 s45, 0
	s_mov_b32 s46, 0
	.p2align	6
.LBB3_48:                               ;   Parent Loop BB3_12 Depth=1
                                        ;     Parent Loop BB3_27 Depth=2
                                        ;       Parent Loop BB3_43 Depth=3
                                        ;         Parent Loop BB3_46 Depth=4
                                        ; =>        This Inner Loop Header: Depth=5
	global_load_u16 v28, v[14:15], off
	v_lshlrev_b32_e32 v29, 16, v25
	v_add_co_u32 v14, vcc_lo, v14, s10
	v_add_co_ci_u32_e32 v15, vcc_lo, s11, v15, vcc_lo
	s_waitcnt vmcnt(0)
	v_lshlrev_b32_e32 v31, 16, v28
	s_delay_alu instid0(VALU_DEP_1) | instskip(SKIP_1) | instid1(VALU_DEP_1)
	v_cmp_gt_f32_e32 vcc_lo, v31, v29
	v_cmp_u_f32_e64 s4, v31, v31
	s_or_b32 vcc_lo, vcc_lo, s4
	v_dual_cndmask_b32 v25, v25, v28 :: v_dual_add_nc_u32 v30, s46, v27
	s_add_i32 s46, s46, 1
	s_delay_alu instid0(SALU_CYCLE_1) | instskip(NEXT) | instid1(VALU_DEP_2)
	v_cmp_ge_i32_e64 s5, s46, v26
	v_ashrrev_i32_e32 v29, 31, v30
	v_cndmask_b32_e32 v9, v9, v30, vcc_lo
	s_delay_alu instid0(VALU_DEP_3) | instskip(NEXT) | instid1(VALU_DEP_2)
	s_or_b32 s45, s5, s45
	v_cndmask_b32_e32 v10, v10, v29, vcc_lo
	s_and_not1_b32 exec_lo, exec_lo, s45
	s_cbranch_execnz .LBB3_48
; %bb.49:                               ;   in Loop: Header=BB3_46 Depth=4
	s_or_b32 exec_lo, exec_lo, s45
	s_branch .LBB3_45
.LBB3_50:
	s_nop 0
	s_sendmsg sendmsg(MSG_DEALLOC_VGPRS)
	s_endpgm
.LBB3_51:
                                        ; implicit-def: $sgpr26_sgpr27
	s_branch .LBB3_2
.LBB3_52:
                                        ; implicit-def: $sgpr22_sgpr23
	s_load_b32 s33, s[0:1], 0x64
	s_branch .LBB3_5
.LBB3_53:
                                        ; implicit-def: $vgpr2_vgpr3
	s_load_b32 s2, s[0:1], 0x5c
	s_branch .LBB3_9
	.section	.rodata,"a",@progbits
	.p2align	6, 0x0
	.amdhsa_kernel _ZN2at6native12_GLOBAL__N_115adaptivemaxpoolIN3c108BFloat16EEEvPKT_PS5_Pliiiiiilllll
		.amdhsa_group_segment_fixed_size 0
		.amdhsa_private_segment_fixed_size 0
		.amdhsa_kernarg_size 344
		.amdhsa_user_sgpr_count 14
		.amdhsa_user_sgpr_dispatch_ptr 0
		.amdhsa_user_sgpr_queue_ptr 0
		.amdhsa_user_sgpr_kernarg_segment_ptr 1
		.amdhsa_user_sgpr_dispatch_id 0
		.amdhsa_user_sgpr_private_segment_size 0
		.amdhsa_wavefront_size32 1
		.amdhsa_uses_dynamic_stack 0
		.amdhsa_enable_private_segment 0
		.amdhsa_system_sgpr_workgroup_id_x 1
		.amdhsa_system_sgpr_workgroup_id_y 1
		.amdhsa_system_sgpr_workgroup_id_z 0
		.amdhsa_system_sgpr_workgroup_info 0
		.amdhsa_system_vgpr_workitem_id 1
		.amdhsa_next_free_vgpr 32
		.amdhsa_next_free_sgpr 47
		.amdhsa_reserve_vcc 1
		.amdhsa_float_round_mode_32 0
		.amdhsa_float_round_mode_16_64 0
		.amdhsa_float_denorm_mode_32 3
		.amdhsa_float_denorm_mode_16_64 3
		.amdhsa_dx10_clamp 1
		.amdhsa_ieee_mode 1
		.amdhsa_fp16_overflow 0
		.amdhsa_workgroup_processor_mode 1
		.amdhsa_memory_ordered 1
		.amdhsa_forward_progress 0
		.amdhsa_shared_vgpr_count 0
		.amdhsa_exception_fp_ieee_invalid_op 0
		.amdhsa_exception_fp_denorm_src 0
		.amdhsa_exception_fp_ieee_div_zero 0
		.amdhsa_exception_fp_ieee_overflow 0
		.amdhsa_exception_fp_ieee_underflow 0
		.amdhsa_exception_fp_ieee_inexact 0
		.amdhsa_exception_int_div_zero 0
	.end_amdhsa_kernel
	.section	.text._ZN2at6native12_GLOBAL__N_115adaptivemaxpoolIN3c108BFloat16EEEvPKT_PS5_Pliiiiiilllll,"axG",@progbits,_ZN2at6native12_GLOBAL__N_115adaptivemaxpoolIN3c108BFloat16EEEvPKT_PS5_Pliiiiiilllll,comdat
.Lfunc_end3:
	.size	_ZN2at6native12_GLOBAL__N_115adaptivemaxpoolIN3c108BFloat16EEEvPKT_PS5_Pliiiiiilllll, .Lfunc_end3-_ZN2at6native12_GLOBAL__N_115adaptivemaxpoolIN3c108BFloat16EEEvPKT_PS5_Pliiiiiilllll
                                        ; -- End function
	.section	.AMDGPU.csdata,"",@progbits
; Kernel info:
; codeLenInByte = 8908
; NumSgprs: 49
; NumVgprs: 32
; ScratchSize: 0
; MemoryBound: 0
; FloatMode: 240
; IeeeMode: 1
; LDSByteSize: 0 bytes/workgroup (compile time only)
; SGPRBlocks: 6
; VGPRBlocks: 3
; NumSGPRsForWavesPerEU: 49
; NumVGPRsForWavesPerEU: 32
; Occupancy: 16
; WaveLimiterHint : 0
; COMPUTE_PGM_RSRC2:SCRATCH_EN: 0
; COMPUTE_PGM_RSRC2:USER_SGPR: 14
; COMPUTE_PGM_RSRC2:TRAP_HANDLER: 0
; COMPUTE_PGM_RSRC2:TGID_X_EN: 1
; COMPUTE_PGM_RSRC2:TGID_Y_EN: 1
; COMPUTE_PGM_RSRC2:TGID_Z_EN: 0
; COMPUTE_PGM_RSRC2:TIDIG_COMP_CNT: 1
	.section	.text._ZN2at6native12_GLOBAL__N_126atomicadaptivemaxgradinputIdEEvPT_PKS3_PKliiiiiil,"axG",@progbits,_ZN2at6native12_GLOBAL__N_126atomicadaptivemaxgradinputIdEEvPT_PKS3_PKliiiiiil,comdat
	.globl	_ZN2at6native12_GLOBAL__N_126atomicadaptivemaxgradinputIdEEvPT_PKS3_PKliiiiiil ; -- Begin function _ZN2at6native12_GLOBAL__N_126atomicadaptivemaxgradinputIdEEvPT_PKS3_PKliiiiiil
	.p2align	8
	.type	_ZN2at6native12_GLOBAL__N_126atomicadaptivemaxgradinputIdEEvPT_PKS3_PKliiiiiil,@function
_ZN2at6native12_GLOBAL__N_126atomicadaptivemaxgradinputIdEEvPT_PKS3_PKliiiiiil: ; @_ZN2at6native12_GLOBAL__N_126atomicadaptivemaxgradinputIdEEvPT_PKS3_PKliiiiiil
; %bb.0:
	s_load_b256 s[4:11], s[0:1], 0x18
	s_waitcnt lgkmcnt(0)
	s_add_u32 s2, s14, s10
	s_addc_u32 s3, 0, s11
	s_ashr_i32 s11, s7, 31
	s_mov_b32 s10, s7
	s_delay_alu instid0(SALU_CYCLE_1) | instskip(SKIP_1) | instid1(SALU_CYCLE_1)
	s_or_b64 s[12:13], s[2:3], s[10:11]
	s_mov_b32 s12, 0
	s_cmp_lg_u64 s[12:13], 0
	s_cbranch_scc0 .LBB4_12
; %bb.1:
	s_add_u32 s18, s10, s11
	s_mov_b32 s16, s11
	s_mov_b32 s17, s11
	s_addc_u32 s19, s11, s11
	s_delay_alu instid0(SALU_CYCLE_1) | instskip(NEXT) | instid1(SALU_CYCLE_1)
	s_xor_b64 s[18:19], s[18:19], s[16:17]
	v_cvt_f32_u32_e32 v1, s18
	v_cvt_f32_u32_e32 v2, s19
	s_sub_u32 s13, 0, s18
	s_subb_u32 s14, 0, s19
	s_delay_alu instid0(VALU_DEP_1) | instskip(NEXT) | instid1(VALU_DEP_1)
	v_fmamk_f32 v1, v2, 0x4f800000, v1
	v_rcp_f32_e32 v1, v1
	s_waitcnt_depctr 0xfff
	v_mul_f32_e32 v1, 0x5f7ffffc, v1
	s_delay_alu instid0(VALU_DEP_1) | instskip(NEXT) | instid1(VALU_DEP_1)
	v_mul_f32_e32 v2, 0x2f800000, v1
	v_trunc_f32_e32 v2, v2
	s_delay_alu instid0(VALU_DEP_1) | instskip(SKIP_1) | instid1(VALU_DEP_2)
	v_fmamk_f32 v1, v2, 0xcf800000, v1
	v_cvt_u32_f32_e32 v2, v2
	v_cvt_u32_f32_e32 v1, v1
	s_delay_alu instid0(VALU_DEP_2) | instskip(NEXT) | instid1(VALU_DEP_2)
	v_readfirstlane_b32 s7, v2
	v_readfirstlane_b32 s11, v1
	s_delay_alu instid0(VALU_DEP_2) | instskip(NEXT) | instid1(VALU_DEP_1)
	s_mul_i32 s20, s13, s7
	s_mul_hi_u32 s22, s13, s11
	s_mul_i32 s21, s14, s11
	s_add_i32 s20, s22, s20
	s_mul_i32 s23, s13, s11
	s_add_i32 s20, s20, s21
	s_mul_hi_u32 s22, s11, s23
	s_mul_hi_u32 s24, s7, s23
	s_mul_i32 s21, s7, s23
	s_mul_hi_u32 s23, s11, s20
	s_mul_i32 s11, s11, s20
	s_mul_hi_u32 s25, s7, s20
	s_add_u32 s11, s22, s11
	s_addc_u32 s22, 0, s23
	s_add_u32 s11, s11, s21
	s_mul_i32 s20, s7, s20
	s_addc_u32 s11, s22, s24
	s_addc_u32 s21, s25, 0
	s_add_u32 s11, s11, s20
	s_addc_u32 s20, 0, s21
	v_add_co_u32 v1, s11, v1, s11
	s_delay_alu instid0(VALU_DEP_1) | instskip(SKIP_1) | instid1(VALU_DEP_1)
	s_cmp_lg_u32 s11, 0
	s_addc_u32 s7, s7, s20
	v_readfirstlane_b32 s11, v1
	s_mul_i32 s20, s13, s7
	s_delay_alu instid0(VALU_DEP_1)
	s_mul_hi_u32 s21, s13, s11
	s_mul_i32 s14, s14, s11
	s_add_i32 s20, s21, s20
	s_mul_i32 s13, s13, s11
	s_add_i32 s20, s20, s14
	s_mul_hi_u32 s21, s7, s13
	s_mul_i32 s22, s7, s13
	s_mul_hi_u32 s13, s11, s13
	s_mul_hi_u32 s23, s11, s20
	s_mul_i32 s11, s11, s20
	s_mul_hi_u32 s14, s7, s20
	s_add_u32 s11, s13, s11
	s_addc_u32 s13, 0, s23
	s_add_u32 s11, s11, s22
	s_mul_i32 s20, s7, s20
	s_addc_u32 s11, s13, s21
	s_addc_u32 s13, s14, 0
	s_add_u32 s11, s11, s20
	s_addc_u32 s13, 0, s13
	v_add_co_u32 v1, s11, v1, s11
	s_delay_alu instid0(VALU_DEP_1) | instskip(SKIP_2) | instid1(VALU_DEP_1)
	s_cmp_lg_u32 s11, 0
	s_addc_u32 s7, s7, s13
	s_ashr_i32 s20, s3, 31
	v_readfirstlane_b32 s11, v1
	s_add_u32 s22, s2, s20
	s_mov_b32 s21, s20
	s_addc_u32 s23, s3, s20
	s_delay_alu instid0(SALU_CYCLE_1) | instskip(NEXT) | instid1(SALU_CYCLE_1)
	s_xor_b64 s[22:23], s[22:23], s[20:21]
	s_mul_i32 s14, s22, s7
	s_mul_hi_u32 s24, s22, s11
	s_mul_hi_u32 s13, s22, s7
	;; [unrolled: 1-line block ×3, first 2 shown]
	s_mul_i32 s11, s23, s11
	s_add_u32 s14, s24, s14
	s_addc_u32 s13, 0, s13
	s_mul_hi_u32 s25, s23, s7
	s_add_u32 s11, s14, s11
	s_mul_i32 s7, s23, s7
	s_addc_u32 s11, s13, s26
	s_addc_u32 s13, s25, 0
	s_add_u32 s7, s11, s7
	s_addc_u32 s11, 0, s13
	s_mul_i32 s25, s18, s7
	s_mul_hi_u32 s13, s18, s7
	s_mul_i32 s24, s18, s11
	v_sub_co_u32 v1, s22, s22, s25
	s_mul_i32 s14, s19, s7
	s_add_i32 s13, s13, s24
	s_delay_alu instid0(SALU_CYCLE_1) | instskip(NEXT) | instid1(VALU_DEP_1)
	s_add_i32 s13, s13, s14
	v_sub_co_u32 v2, s24, v1, s18
	s_sub_i32 s14, s23, s13
	s_cmp_lg_u32 s22, 0
	s_subb_u32 s14, s14, s19
	s_cmp_lg_u32 s24, 0
	v_readfirstlane_b32 s24, v2
	s_subb_u32 s14, s14, 0
	s_delay_alu instid0(SALU_CYCLE_1) | instskip(SKIP_1) | instid1(VALU_DEP_1)
	s_cmp_ge_u32 s14, s19
	s_cselect_b32 s25, -1, 0
	s_cmp_ge_u32 s24, s18
	s_cselect_b32 s24, -1, 0
	s_cmp_eq_u32 s14, s19
	s_cselect_b32 s14, s24, s25
	s_add_u32 s24, s7, 1
	s_addc_u32 s25, s11, 0
	s_add_u32 s26, s7, 2
	s_addc_u32 s27, s11, 0
	s_cmp_lg_u32 s14, 0
	s_cselect_b32 s14, s26, s24
	s_cselect_b32 s24, s27, s25
	s_cmp_lg_u32 s22, 0
	v_readfirstlane_b32 s22, v1
	s_subb_u32 s13, s23, s13
	s_delay_alu instid0(SALU_CYCLE_1) | instskip(SKIP_1) | instid1(VALU_DEP_1)
	s_cmp_ge_u32 s13, s19
	s_cselect_b32 s23, -1, 0
	s_cmp_ge_u32 s22, s18
	s_cselect_b32 s18, -1, 0
	s_cmp_eq_u32 s13, s19
	s_cselect_b32 s13, s18, s23
	s_delay_alu instid0(SALU_CYCLE_1) | instskip(SKIP_3) | instid1(SALU_CYCLE_1)
	s_cmp_lg_u32 s13, 0
	s_cselect_b32 s19, s24, s11
	s_cselect_b32 s18, s14, s7
	s_xor_b64 s[16:17], s[20:21], s[16:17]
	s_xor_b64 s[18:19], s[18:19], s[16:17]
	s_delay_alu instid0(SALU_CYCLE_1)
	s_sub_u32 s16, s18, s16
	s_load_b32 s7, s[0:1], 0x44
	s_and_not1_b32 vcc_lo, exec_lo, s12
	s_cbranch_vccnz .LBB4_3
.LBB4_2:
	v_cvt_f32_u32_e32 v1, s10
	s_sub_i32 s12, 0, s10
	s_delay_alu instid0(VALU_DEP_1) | instskip(SKIP_2) | instid1(VALU_DEP_1)
	v_rcp_iflag_f32_e32 v1, v1
	s_waitcnt_depctr 0xfff
	v_mul_f32_e32 v1, 0x4f7ffffe, v1
	v_cvt_u32_f32_e32 v1, v1
	s_delay_alu instid0(VALU_DEP_1) | instskip(NEXT) | instid1(VALU_DEP_1)
	v_readfirstlane_b32 s11, v1
	s_mul_i32 s12, s12, s11
	s_delay_alu instid0(SALU_CYCLE_1) | instskip(NEXT) | instid1(SALU_CYCLE_1)
	s_mul_hi_u32 s12, s11, s12
	s_add_i32 s11, s11, s12
	s_delay_alu instid0(SALU_CYCLE_1) | instskip(NEXT) | instid1(SALU_CYCLE_1)
	s_mul_hi_u32 s11, s2, s11
	s_mul_i32 s12, s11, s10
	s_add_i32 s13, s11, 1
	s_sub_i32 s12, s2, s12
	s_delay_alu instid0(SALU_CYCLE_1)
	s_sub_i32 s14, s12, s10
	s_cmp_ge_u32 s12, s10
	s_cselect_b32 s11, s13, s11
	s_cselect_b32 s12, s14, s12
	s_add_i32 s13, s11, 1
	s_cmp_ge_u32 s12, s10
	s_cselect_b32 s16, s13, s11
.LBB4_3:
	v_bfe_u32 v1, v0, 10, 10
	s_waitcnt lgkmcnt(0)
	s_lshr_b32 s10, s7, 16
	s_mov_b32 s11, exec_lo
	s_delay_alu instid0(VALU_DEP_1) | instskip(NEXT) | instid1(VALU_DEP_1)
	v_mad_u64_u32 v[4:5], null, s15, s10, v[1:2]
	v_cmpx_gt_i32_e64 s8, v4
	s_cbranch_execz .LBB4_11
; %bb.4:
	s_clause 0x2
	s_load_b128 s[12:15], s[0:1], 0x0
	s_load_b32 s11, s[0:1], 0x3c
	s_load_b64 s[18:19], s[0:1], 0x10
	s_mul_i32 s0, s5, s4
	s_mul_i32 s20, s9, s8
	;; [unrolled: 1-line block ×3, first 2 shown]
	s_mul_hi_i32 s17, s9, s8
	s_mul_i32 s0, s0, s16
	s_mul_i32 s6, s20, s3
	s_ashr_i32 s1, s0, 31
	s_mul_hi_u32 s16, s20, s2
	s_lshl_b64 s[4:5], s[0:1], 3
	s_mul_i32 s17, s17, s2
	v_dual_mov_b32 v6, 0 :: v_dual_and_b32 v11, 0x3ff, v0
	s_delay_alu instid0(VALU_DEP_1)
	v_cmp_gt_i32_e32 vcc_lo, s9, v11
	s_waitcnt lgkmcnt(0)
	s_add_u32 s1, s12, s4
	s_addc_u32 s3, s13, s5
	s_add_i32 s0, s16, s6
	s_mul_i32 s4, s20, s2
	s_add_i32 s5, s0, s17
	s_mul_i32 s2, s11, s10
	s_lshl_b64 s[12:13], s[4:5], 3
	s_mov_b32 s11, 0
	s_add_u32 s4, s14, s12
	s_addc_u32 s5, s15, s13
	s_add_u32 s6, s18, s12
	s_addc_u32 s10, s19, s13
	s_and_b32 s7, s7, 0xffff
	s_branch .LBB4_6
.LBB4_5:                                ;   in Loop: Header=BB4_6 Depth=1
	s_set_inst_prefetch_distance 0x2
	s_or_b32 exec_lo, exec_lo, s12
	v_add_nc_u32_e32 v4, s2, v4
	s_delay_alu instid0(VALU_DEP_1) | instskip(NEXT) | instid1(VALU_DEP_1)
	v_cmp_le_i32_e64 s0, s8, v4
	s_or_b32 s11, s0, s11
	s_delay_alu instid0(SALU_CYCLE_1)
	s_and_not1_b32 exec_lo, exec_lo, s11
	s_cbranch_execz .LBB4_11
.LBB4_6:                                ; =>This Loop Header: Depth=1
                                        ;     Child Loop BB4_8 Depth 2
                                        ;       Child Loop BB4_9 Depth 3
	s_and_saveexec_b32 s12, vcc_lo
	s_cbranch_execz .LBB4_5
; %bb.7:                                ;   in Loop: Header=BB4_6 Depth=1
	v_mul_lo_u32 v0, v4, s9
	v_mov_b32_e32 v5, v11
	s_mov_b32 s13, 0
	s_delay_alu instid0(VALU_DEP_2) | instskip(NEXT) | instid1(VALU_DEP_1)
	v_ashrrev_i32_e32 v1, 31, v0
	v_lshlrev_b64 v[0:1], 3, v[0:1]
	s_delay_alu instid0(VALU_DEP_1) | instskip(NEXT) | instid1(VALU_DEP_1)
	v_add_co_u32 v12, s0, s4, v0
	v_add_co_ci_u32_e64 v13, s0, s5, v1, s0
	v_add_co_u32 v14, s0, s6, v0
	s_delay_alu instid0(VALU_DEP_1)
	v_add_co_ci_u32_e64 v15, s0, s10, v1, s0
	s_set_inst_prefetch_distance 0x1
	.p2align	6
.LBB4_8:                                ;   Parent Loop BB4_6 Depth=1
                                        ; =>  This Loop Header: Depth=2
                                        ;       Child Loop BB4_9 Depth 3
	v_lshlrev_b64 v[0:1], 3, v[5:6]
	s_mov_b32 s14, 0
	s_delay_alu instid0(VALU_DEP_1) | instskip(NEXT) | instid1(VALU_DEP_1)
	v_add_co_u32 v2, s0, v14, v0
	v_add_co_ci_u32_e64 v3, s0, v15, v1, s0
	v_add_co_u32 v0, s0, v12, v0
	s_delay_alu instid0(VALU_DEP_1) | instskip(SKIP_3) | instid1(VALU_DEP_1)
	v_add_co_ci_u32_e64 v1, s0, v13, v1, s0
	global_load_b64 v[2:3], v[2:3], off
	s_waitcnt vmcnt(0)
	v_lshlrev_b64 v[2:3], 3, v[2:3]
	v_add_co_u32 v7, s0, s1, v2
	s_delay_alu instid0(VALU_DEP_1)
	v_add_co_ci_u32_e64 v8, s0, s3, v3, s0
	global_load_b64 v[9:10], v[0:1], off
	global_load_b64 v[2:3], v[7:8], off
.LBB4_9:                                ;   Parent Loop BB4_6 Depth=1
                                        ;     Parent Loop BB4_8 Depth=2
                                        ; =>    This Inner Loop Header: Depth=3
	s_waitcnt vmcnt(0)
	v_add_f64 v[0:1], v[2:3], v[9:10]
	global_atomic_cmpswap_b64 v[0:1], v[7:8], v[0:3], off glc
	s_waitcnt vmcnt(0)
	v_cmp_eq_u64_e64 s0, v[0:1], v[2:3]
	v_dual_mov_b32 v3, v1 :: v_dual_mov_b32 v2, v0
	s_delay_alu instid0(VALU_DEP_2) | instskip(NEXT) | instid1(SALU_CYCLE_1)
	s_or_b32 s14, s0, s14
	s_and_not1_b32 exec_lo, exec_lo, s14
	s_cbranch_execnz .LBB4_9
; %bb.10:                               ;   in Loop: Header=BB4_8 Depth=2
	s_or_b32 exec_lo, exec_lo, s14
	v_add_nc_u32_e32 v5, s7, v5
	s_delay_alu instid0(VALU_DEP_1) | instskip(NEXT) | instid1(VALU_DEP_1)
	v_cmp_le_i32_e64 s0, s9, v5
	s_or_b32 s13, s0, s13
	s_delay_alu instid0(SALU_CYCLE_1)
	s_and_not1_b32 exec_lo, exec_lo, s13
	s_cbranch_execnz .LBB4_8
	s_branch .LBB4_5
.LBB4_11:
	s_endpgm
.LBB4_12:
                                        ; implicit-def: $sgpr16_sgpr17
	s_load_b32 s7, s[0:1], 0x44
	s_branch .LBB4_2
	.section	.rodata,"a",@progbits
	.p2align	6, 0x0
	.amdhsa_kernel _ZN2at6native12_GLOBAL__N_126atomicadaptivemaxgradinputIdEEvPT_PKS3_PKliiiiiil
		.amdhsa_group_segment_fixed_size 0
		.amdhsa_private_segment_fixed_size 0
		.amdhsa_kernarg_size 312
		.amdhsa_user_sgpr_count 14
		.amdhsa_user_sgpr_dispatch_ptr 0
		.amdhsa_user_sgpr_queue_ptr 0
		.amdhsa_user_sgpr_kernarg_segment_ptr 1
		.amdhsa_user_sgpr_dispatch_id 0
		.amdhsa_user_sgpr_private_segment_size 0
		.amdhsa_wavefront_size32 1
		.amdhsa_uses_dynamic_stack 0
		.amdhsa_enable_private_segment 0
		.amdhsa_system_sgpr_workgroup_id_x 1
		.amdhsa_system_sgpr_workgroup_id_y 1
		.amdhsa_system_sgpr_workgroup_id_z 0
		.amdhsa_system_sgpr_workgroup_info 0
		.amdhsa_system_vgpr_workitem_id 1
		.amdhsa_next_free_vgpr 16
		.amdhsa_next_free_sgpr 28
		.amdhsa_reserve_vcc 1
		.amdhsa_float_round_mode_32 0
		.amdhsa_float_round_mode_16_64 0
		.amdhsa_float_denorm_mode_32 3
		.amdhsa_float_denorm_mode_16_64 3
		.amdhsa_dx10_clamp 1
		.amdhsa_ieee_mode 1
		.amdhsa_fp16_overflow 0
		.amdhsa_workgroup_processor_mode 1
		.amdhsa_memory_ordered 1
		.amdhsa_forward_progress 0
		.amdhsa_shared_vgpr_count 0
		.amdhsa_exception_fp_ieee_invalid_op 0
		.amdhsa_exception_fp_denorm_src 0
		.amdhsa_exception_fp_ieee_div_zero 0
		.amdhsa_exception_fp_ieee_overflow 0
		.amdhsa_exception_fp_ieee_underflow 0
		.amdhsa_exception_fp_ieee_inexact 0
		.amdhsa_exception_int_div_zero 0
	.end_amdhsa_kernel
	.section	.text._ZN2at6native12_GLOBAL__N_126atomicadaptivemaxgradinputIdEEvPT_PKS3_PKliiiiiil,"axG",@progbits,_ZN2at6native12_GLOBAL__N_126atomicadaptivemaxgradinputIdEEvPT_PKS3_PKliiiiiil,comdat
.Lfunc_end4:
	.size	_ZN2at6native12_GLOBAL__N_126atomicadaptivemaxgradinputIdEEvPT_PKS3_PKliiiiiil, .Lfunc_end4-_ZN2at6native12_GLOBAL__N_126atomicadaptivemaxgradinputIdEEvPT_PKS3_PKliiiiiil
                                        ; -- End function
	.section	.AMDGPU.csdata,"",@progbits
; Kernel info:
; codeLenInByte = 1320
; NumSgprs: 30
; NumVgprs: 16
; ScratchSize: 0
; MemoryBound: 0
; FloatMode: 240
; IeeeMode: 1
; LDSByteSize: 0 bytes/workgroup (compile time only)
; SGPRBlocks: 3
; VGPRBlocks: 1
; NumSGPRsForWavesPerEU: 30
; NumVGPRsForWavesPerEU: 16
; Occupancy: 16
; WaveLimiterHint : 1
; COMPUTE_PGM_RSRC2:SCRATCH_EN: 0
; COMPUTE_PGM_RSRC2:USER_SGPR: 14
; COMPUTE_PGM_RSRC2:TRAP_HANDLER: 0
; COMPUTE_PGM_RSRC2:TGID_X_EN: 1
; COMPUTE_PGM_RSRC2:TGID_Y_EN: 1
; COMPUTE_PGM_RSRC2:TGID_Z_EN: 0
; COMPUTE_PGM_RSRC2:TIDIG_COMP_CNT: 1
	.section	.text._ZN2at6native12_GLOBAL__N_126atomicadaptivemaxgradinputIfEEvPT_PKS3_PKliiiiiil,"axG",@progbits,_ZN2at6native12_GLOBAL__N_126atomicadaptivemaxgradinputIfEEvPT_PKS3_PKliiiiiil,comdat
	.globl	_ZN2at6native12_GLOBAL__N_126atomicadaptivemaxgradinputIfEEvPT_PKS3_PKliiiiiil ; -- Begin function _ZN2at6native12_GLOBAL__N_126atomicadaptivemaxgradinputIfEEvPT_PKS3_PKliiiiiil
	.p2align	8
	.type	_ZN2at6native12_GLOBAL__N_126atomicadaptivemaxgradinputIfEEvPT_PKS3_PKliiiiiil,@function
_ZN2at6native12_GLOBAL__N_126atomicadaptivemaxgradinputIfEEvPT_PKS3_PKliiiiiil: ; @_ZN2at6native12_GLOBAL__N_126atomicadaptivemaxgradinputIfEEvPT_PKS3_PKliiiiiil
; %bb.0:
	s_load_b256 s[4:11], s[0:1], 0x18
	s_waitcnt lgkmcnt(0)
	s_add_u32 s2, s14, s10
	s_addc_u32 s3, 0, s11
	s_ashr_i32 s11, s7, 31
	s_mov_b32 s10, s7
	s_delay_alu instid0(SALU_CYCLE_1) | instskip(SKIP_1) | instid1(SALU_CYCLE_1)
	s_or_b64 s[12:13], s[2:3], s[10:11]
	s_mov_b32 s12, 0
	s_cmp_lg_u64 s[12:13], 0
	s_cbranch_scc0 .LBB5_12
; %bb.1:
	s_add_u32 s18, s10, s11
	s_mov_b32 s16, s11
	s_mov_b32 s17, s11
	s_addc_u32 s19, s11, s11
	s_delay_alu instid0(SALU_CYCLE_1) | instskip(NEXT) | instid1(SALU_CYCLE_1)
	s_xor_b64 s[18:19], s[18:19], s[16:17]
	v_cvt_f32_u32_e32 v1, s18
	v_cvt_f32_u32_e32 v2, s19
	s_sub_u32 s13, 0, s18
	s_subb_u32 s14, 0, s19
	s_delay_alu instid0(VALU_DEP_1) | instskip(NEXT) | instid1(VALU_DEP_1)
	v_fmamk_f32 v1, v2, 0x4f800000, v1
	v_rcp_f32_e32 v1, v1
	s_waitcnt_depctr 0xfff
	v_mul_f32_e32 v1, 0x5f7ffffc, v1
	s_delay_alu instid0(VALU_DEP_1) | instskip(NEXT) | instid1(VALU_DEP_1)
	v_mul_f32_e32 v2, 0x2f800000, v1
	v_trunc_f32_e32 v2, v2
	s_delay_alu instid0(VALU_DEP_1) | instskip(SKIP_1) | instid1(VALU_DEP_2)
	v_fmamk_f32 v1, v2, 0xcf800000, v1
	v_cvt_u32_f32_e32 v2, v2
	v_cvt_u32_f32_e32 v1, v1
	s_delay_alu instid0(VALU_DEP_2) | instskip(NEXT) | instid1(VALU_DEP_2)
	v_readfirstlane_b32 s7, v2
	v_readfirstlane_b32 s11, v1
	s_delay_alu instid0(VALU_DEP_2) | instskip(NEXT) | instid1(VALU_DEP_1)
	s_mul_i32 s20, s13, s7
	s_mul_hi_u32 s22, s13, s11
	s_mul_i32 s21, s14, s11
	s_add_i32 s20, s22, s20
	s_mul_i32 s23, s13, s11
	s_add_i32 s20, s20, s21
	s_mul_hi_u32 s22, s11, s23
	s_mul_hi_u32 s24, s7, s23
	s_mul_i32 s21, s7, s23
	s_mul_hi_u32 s23, s11, s20
	s_mul_i32 s11, s11, s20
	s_mul_hi_u32 s25, s7, s20
	s_add_u32 s11, s22, s11
	s_addc_u32 s22, 0, s23
	s_add_u32 s11, s11, s21
	s_mul_i32 s20, s7, s20
	s_addc_u32 s11, s22, s24
	s_addc_u32 s21, s25, 0
	s_add_u32 s11, s11, s20
	s_addc_u32 s20, 0, s21
	v_add_co_u32 v1, s11, v1, s11
	s_delay_alu instid0(VALU_DEP_1) | instskip(SKIP_1) | instid1(VALU_DEP_1)
	s_cmp_lg_u32 s11, 0
	s_addc_u32 s7, s7, s20
	v_readfirstlane_b32 s11, v1
	s_mul_i32 s20, s13, s7
	s_delay_alu instid0(VALU_DEP_1)
	s_mul_hi_u32 s21, s13, s11
	s_mul_i32 s14, s14, s11
	s_add_i32 s20, s21, s20
	s_mul_i32 s13, s13, s11
	s_add_i32 s20, s20, s14
	s_mul_hi_u32 s21, s7, s13
	s_mul_i32 s22, s7, s13
	s_mul_hi_u32 s13, s11, s13
	s_mul_hi_u32 s23, s11, s20
	s_mul_i32 s11, s11, s20
	s_mul_hi_u32 s14, s7, s20
	s_add_u32 s11, s13, s11
	s_addc_u32 s13, 0, s23
	s_add_u32 s11, s11, s22
	s_mul_i32 s20, s7, s20
	s_addc_u32 s11, s13, s21
	s_addc_u32 s13, s14, 0
	s_add_u32 s11, s11, s20
	s_addc_u32 s13, 0, s13
	v_add_co_u32 v1, s11, v1, s11
	s_delay_alu instid0(VALU_DEP_1) | instskip(SKIP_2) | instid1(VALU_DEP_1)
	s_cmp_lg_u32 s11, 0
	s_addc_u32 s7, s7, s13
	s_ashr_i32 s20, s3, 31
	v_readfirstlane_b32 s11, v1
	s_add_u32 s22, s2, s20
	s_mov_b32 s21, s20
	s_addc_u32 s23, s3, s20
	s_delay_alu instid0(SALU_CYCLE_1) | instskip(NEXT) | instid1(SALU_CYCLE_1)
	s_xor_b64 s[22:23], s[22:23], s[20:21]
	s_mul_i32 s14, s22, s7
	s_mul_hi_u32 s24, s22, s11
	s_mul_hi_u32 s13, s22, s7
	;; [unrolled: 1-line block ×3, first 2 shown]
	s_mul_i32 s11, s23, s11
	s_add_u32 s14, s24, s14
	s_addc_u32 s13, 0, s13
	s_mul_hi_u32 s25, s23, s7
	s_add_u32 s11, s14, s11
	s_mul_i32 s7, s23, s7
	s_addc_u32 s11, s13, s26
	s_addc_u32 s13, s25, 0
	s_add_u32 s7, s11, s7
	s_addc_u32 s11, 0, s13
	s_mul_i32 s25, s18, s7
	s_mul_hi_u32 s13, s18, s7
	s_mul_i32 s24, s18, s11
	v_sub_co_u32 v1, s22, s22, s25
	s_mul_i32 s14, s19, s7
	s_add_i32 s13, s13, s24
	s_delay_alu instid0(SALU_CYCLE_1) | instskip(NEXT) | instid1(VALU_DEP_1)
	s_add_i32 s13, s13, s14
	v_sub_co_u32 v2, s24, v1, s18
	s_sub_i32 s14, s23, s13
	s_cmp_lg_u32 s22, 0
	s_subb_u32 s14, s14, s19
	s_cmp_lg_u32 s24, 0
	v_readfirstlane_b32 s24, v2
	s_subb_u32 s14, s14, 0
	s_delay_alu instid0(SALU_CYCLE_1) | instskip(SKIP_1) | instid1(VALU_DEP_1)
	s_cmp_ge_u32 s14, s19
	s_cselect_b32 s25, -1, 0
	s_cmp_ge_u32 s24, s18
	s_cselect_b32 s24, -1, 0
	s_cmp_eq_u32 s14, s19
	s_cselect_b32 s14, s24, s25
	s_add_u32 s24, s7, 1
	s_addc_u32 s25, s11, 0
	s_add_u32 s26, s7, 2
	s_addc_u32 s27, s11, 0
	s_cmp_lg_u32 s14, 0
	s_cselect_b32 s14, s26, s24
	s_cselect_b32 s24, s27, s25
	s_cmp_lg_u32 s22, 0
	v_readfirstlane_b32 s22, v1
	s_subb_u32 s13, s23, s13
	s_delay_alu instid0(SALU_CYCLE_1) | instskip(SKIP_1) | instid1(VALU_DEP_1)
	s_cmp_ge_u32 s13, s19
	s_cselect_b32 s23, -1, 0
	s_cmp_ge_u32 s22, s18
	s_cselect_b32 s18, -1, 0
	s_cmp_eq_u32 s13, s19
	s_cselect_b32 s13, s18, s23
	s_delay_alu instid0(SALU_CYCLE_1) | instskip(SKIP_3) | instid1(SALU_CYCLE_1)
	s_cmp_lg_u32 s13, 0
	s_cselect_b32 s19, s24, s11
	s_cselect_b32 s18, s14, s7
	s_xor_b64 s[16:17], s[20:21], s[16:17]
	s_xor_b64 s[18:19], s[18:19], s[16:17]
	s_delay_alu instid0(SALU_CYCLE_1)
	s_sub_u32 s16, s18, s16
	s_load_b32 s7, s[0:1], 0x44
	s_and_not1_b32 vcc_lo, exec_lo, s12
	s_cbranch_vccnz .LBB5_3
.LBB5_2:
	v_cvt_f32_u32_e32 v1, s10
	s_sub_i32 s12, 0, s10
	s_delay_alu instid0(VALU_DEP_1) | instskip(SKIP_2) | instid1(VALU_DEP_1)
	v_rcp_iflag_f32_e32 v1, v1
	s_waitcnt_depctr 0xfff
	v_mul_f32_e32 v1, 0x4f7ffffe, v1
	v_cvt_u32_f32_e32 v1, v1
	s_delay_alu instid0(VALU_DEP_1) | instskip(NEXT) | instid1(VALU_DEP_1)
	v_readfirstlane_b32 s11, v1
	s_mul_i32 s12, s12, s11
	s_delay_alu instid0(SALU_CYCLE_1) | instskip(NEXT) | instid1(SALU_CYCLE_1)
	s_mul_hi_u32 s12, s11, s12
	s_add_i32 s11, s11, s12
	s_delay_alu instid0(SALU_CYCLE_1) | instskip(NEXT) | instid1(SALU_CYCLE_1)
	s_mul_hi_u32 s11, s2, s11
	s_mul_i32 s12, s11, s10
	s_add_i32 s13, s11, 1
	s_sub_i32 s12, s2, s12
	s_delay_alu instid0(SALU_CYCLE_1)
	s_sub_i32 s14, s12, s10
	s_cmp_ge_u32 s12, s10
	s_cselect_b32 s11, s13, s11
	s_cselect_b32 s12, s14, s12
	s_add_i32 s13, s11, 1
	s_cmp_ge_u32 s12, s10
	s_cselect_b32 s16, s13, s11
.LBB5_3:
	v_bfe_u32 v3, v0, 10, 10
	s_waitcnt lgkmcnt(0)
	s_lshr_b32 s10, s7, 16
	s_mov_b32 s11, exec_lo
	s_delay_alu instid0(VALU_DEP_1) | instskip(NEXT) | instid1(VALU_DEP_1)
	v_mad_u64_u32 v[1:2], null, s15, s10, v[3:4]
	v_cmpx_gt_i32_e64 s8, v1
	s_cbranch_execz .LBB5_11
; %bb.4:
	s_clause 0x2
	s_load_b128 s[12:15], s[0:1], 0x0
	s_load_b32 s11, s[0:1], 0x3c
	s_load_b64 s[18:19], s[0:1], 0x10
	s_mul_i32 s0, s5, s4
	s_mul_i32 s20, s9, s8
	;; [unrolled: 1-line block ×3, first 2 shown]
	s_mul_hi_i32 s17, s9, s8
	s_mul_i32 s0, s0, s16
	s_mul_i32 s6, s20, s3
	s_ashr_i32 s1, s0, 31
	s_mul_hi_u32 s16, s20, s2
	s_lshl_b64 s[4:5], s[0:1], 2
	s_mul_i32 s17, s17, s2
	v_dual_mov_b32 v3, 0 :: v_dual_and_b32 v0, 0x3ff, v0
	s_delay_alu instid0(VALU_DEP_1)
	v_cmp_gt_i32_e32 vcc_lo, s9, v0
	s_waitcnt lgkmcnt(0)
	s_add_u32 s1, s12, s4
	s_addc_u32 s3, s13, s5
	s_add_i32 s0, s16, s6
	s_mul_i32 s12, s20, s2
	s_add_i32 s13, s0, s17
	s_delay_alu instid0(SALU_CYCLE_1) | instskip(NEXT) | instid1(SALU_CYCLE_1)
	s_lshl_b64 s[4:5], s[12:13], 2
	s_add_u32 s2, s14, s4
	s_addc_u32 s4, s15, s5
	s_lshl_b64 s[12:13], s[12:13], 3
	s_mul_i32 s5, s11, s10
	s_add_u32 s6, s18, s12
	s_addc_u32 s10, s19, s13
	s_and_b32 s7, s7, 0xffff
	s_mov_b32 s11, 0
	s_branch .LBB5_6
.LBB5_5:                                ;   in Loop: Header=BB5_6 Depth=1
	s_set_inst_prefetch_distance 0x2
	s_or_b32 exec_lo, exec_lo, s12
	v_add_nc_u32_e32 v1, s5, v1
	s_delay_alu instid0(VALU_DEP_1) | instskip(NEXT) | instid1(VALU_DEP_1)
	v_cmp_le_i32_e64 s0, s8, v1
	s_or_b32 s11, s0, s11
	s_delay_alu instid0(SALU_CYCLE_1)
	s_and_not1_b32 exec_lo, exec_lo, s11
	s_cbranch_execz .LBB5_11
.LBB5_6:                                ; =>This Loop Header: Depth=1
                                        ;     Child Loop BB5_8 Depth 2
                                        ;       Child Loop BB5_9 Depth 3
	s_and_saveexec_b32 s12, vcc_lo
	s_cbranch_execz .LBB5_5
; %bb.7:                                ;   in Loop: Header=BB5_6 Depth=1
	v_mul_lo_u32 v4, v1, s9
	v_mov_b32_e32 v2, v0
	s_mov_b32 s13, 0
	s_delay_alu instid0(VALU_DEP_2) | instskip(NEXT) | instid1(VALU_DEP_1)
	v_ashrrev_i32_e32 v5, 31, v4
	v_lshlrev_b64 v[6:7], 2, v[4:5]
	v_lshlrev_b64 v[4:5], 3, v[4:5]
	s_delay_alu instid0(VALU_DEP_2) | instskip(NEXT) | instid1(VALU_DEP_1)
	v_add_co_u32 v8, s0, s2, v6
	v_add_co_ci_u32_e64 v9, s0, s4, v7, s0
	s_delay_alu instid0(VALU_DEP_3) | instskip(NEXT) | instid1(VALU_DEP_1)
	v_add_co_u32 v10, s0, s6, v4
	v_add_co_ci_u32_e64 v11, s0, s10, v5, s0
	s_set_inst_prefetch_distance 0x1
	.p2align	6
.LBB5_8:                                ;   Parent Loop BB5_6 Depth=1
                                        ; =>  This Loop Header: Depth=2
                                        ;       Child Loop BB5_9 Depth 3
	v_lshlrev_b64 v[4:5], 3, v[2:3]
	v_lshlrev_b64 v[6:7], 2, v[2:3]
	s_mov_b32 s14, 0
	s_delay_alu instid0(VALU_DEP_2) | instskip(NEXT) | instid1(VALU_DEP_1)
	v_add_co_u32 v4, s0, v10, v4
	v_add_co_ci_u32_e64 v5, s0, v11, v5, s0
	s_delay_alu instid0(VALU_DEP_3) | instskip(NEXT) | instid1(VALU_DEP_1)
	v_add_co_u32 v6, s0, v8, v6
	v_add_co_ci_u32_e64 v7, s0, v9, v7, s0
	global_load_b64 v[4:5], v[4:5], off
	s_waitcnt vmcnt(0)
	v_lshlrev_b64 v[4:5], 2, v[4:5]
	s_delay_alu instid0(VALU_DEP_1) | instskip(NEXT) | instid1(VALU_DEP_1)
	v_add_co_u32 v4, s0, s1, v4
	v_add_co_ci_u32_e64 v5, s0, s3, v5, s0
	global_load_b32 v12, v[6:7], off
	global_load_b32 v7, v[4:5], off
.LBB5_9:                                ;   Parent Loop BB5_6 Depth=1
                                        ;     Parent Loop BB5_8 Depth=2
                                        ; =>    This Inner Loop Header: Depth=3
	s_waitcnt vmcnt(0)
	v_add_f32_e32 v6, v7, v12
	global_atomic_cmpswap_b32 v6, v[4:5], v[6:7], off glc
	s_waitcnt vmcnt(0)
	v_cmp_eq_u32_e64 s0, v6, v7
	v_mov_b32_e32 v7, v6
	s_delay_alu instid0(VALU_DEP_2) | instskip(NEXT) | instid1(SALU_CYCLE_1)
	s_or_b32 s14, s0, s14
	s_and_not1_b32 exec_lo, exec_lo, s14
	s_cbranch_execnz .LBB5_9
; %bb.10:                               ;   in Loop: Header=BB5_8 Depth=2
	s_or_b32 exec_lo, exec_lo, s14
	v_add_nc_u32_e32 v2, s7, v2
	s_delay_alu instid0(VALU_DEP_1) | instskip(NEXT) | instid1(VALU_DEP_1)
	v_cmp_le_i32_e64 s0, s9, v2
	s_or_b32 s13, s0, s13
	s_delay_alu instid0(SALU_CYCLE_1)
	s_and_not1_b32 exec_lo, exec_lo, s13
	s_cbranch_execnz .LBB5_8
	s_branch .LBB5_5
.LBB5_11:
	s_endpgm
.LBB5_12:
                                        ; implicit-def: $sgpr16_sgpr17
	s_load_b32 s7, s[0:1], 0x44
	s_branch .LBB5_2
	.section	.rodata,"a",@progbits
	.p2align	6, 0x0
	.amdhsa_kernel _ZN2at6native12_GLOBAL__N_126atomicadaptivemaxgradinputIfEEvPT_PKS3_PKliiiiiil
		.amdhsa_group_segment_fixed_size 0
		.amdhsa_private_segment_fixed_size 0
		.amdhsa_kernarg_size 312
		.amdhsa_user_sgpr_count 14
		.amdhsa_user_sgpr_dispatch_ptr 0
		.amdhsa_user_sgpr_queue_ptr 0
		.amdhsa_user_sgpr_kernarg_segment_ptr 1
		.amdhsa_user_sgpr_dispatch_id 0
		.amdhsa_user_sgpr_private_segment_size 0
		.amdhsa_wavefront_size32 1
		.amdhsa_uses_dynamic_stack 0
		.amdhsa_enable_private_segment 0
		.amdhsa_system_sgpr_workgroup_id_x 1
		.amdhsa_system_sgpr_workgroup_id_y 1
		.amdhsa_system_sgpr_workgroup_id_z 0
		.amdhsa_system_sgpr_workgroup_info 0
		.amdhsa_system_vgpr_workitem_id 1
		.amdhsa_next_free_vgpr 13
		.amdhsa_next_free_sgpr 28
		.amdhsa_reserve_vcc 1
		.amdhsa_float_round_mode_32 0
		.amdhsa_float_round_mode_16_64 0
		.amdhsa_float_denorm_mode_32 3
		.amdhsa_float_denorm_mode_16_64 3
		.amdhsa_dx10_clamp 1
		.amdhsa_ieee_mode 1
		.amdhsa_fp16_overflow 0
		.amdhsa_workgroup_processor_mode 1
		.amdhsa_memory_ordered 1
		.amdhsa_forward_progress 0
		.amdhsa_shared_vgpr_count 0
		.amdhsa_exception_fp_ieee_invalid_op 0
		.amdhsa_exception_fp_denorm_src 0
		.amdhsa_exception_fp_ieee_div_zero 0
		.amdhsa_exception_fp_ieee_overflow 0
		.amdhsa_exception_fp_ieee_underflow 0
		.amdhsa_exception_fp_ieee_inexact 0
		.amdhsa_exception_int_div_zero 0
	.end_amdhsa_kernel
	.section	.text._ZN2at6native12_GLOBAL__N_126atomicadaptivemaxgradinputIfEEvPT_PKS3_PKliiiiiil,"axG",@progbits,_ZN2at6native12_GLOBAL__N_126atomicadaptivemaxgradinputIfEEvPT_PKS3_PKliiiiiil,comdat
.Lfunc_end5:
	.size	_ZN2at6native12_GLOBAL__N_126atomicadaptivemaxgradinputIfEEvPT_PKS3_PKliiiiiil, .Lfunc_end5-_ZN2at6native12_GLOBAL__N_126atomicadaptivemaxgradinputIfEEvPT_PKS3_PKliiiiiil
                                        ; -- End function
	.section	.AMDGPU.csdata,"",@progbits
; Kernel info:
; codeLenInByte = 1336
; NumSgprs: 30
; NumVgprs: 13
; ScratchSize: 0
; MemoryBound: 0
; FloatMode: 240
; IeeeMode: 1
; LDSByteSize: 0 bytes/workgroup (compile time only)
; SGPRBlocks: 3
; VGPRBlocks: 1
; NumSGPRsForWavesPerEU: 30
; NumVGPRsForWavesPerEU: 13
; Occupancy: 16
; WaveLimiterHint : 1
; COMPUTE_PGM_RSRC2:SCRATCH_EN: 0
; COMPUTE_PGM_RSRC2:USER_SGPR: 14
; COMPUTE_PGM_RSRC2:TRAP_HANDLER: 0
; COMPUTE_PGM_RSRC2:TGID_X_EN: 1
; COMPUTE_PGM_RSRC2:TGID_Y_EN: 1
; COMPUTE_PGM_RSRC2:TGID_Z_EN: 0
; COMPUTE_PGM_RSRC2:TIDIG_COMP_CNT: 1
	.section	.text._ZN2at6native12_GLOBAL__N_126atomicadaptivemaxgradinputIN3c104HalfEEEvPT_PKS5_PKliiiiiil,"axG",@progbits,_ZN2at6native12_GLOBAL__N_126atomicadaptivemaxgradinputIN3c104HalfEEEvPT_PKS5_PKliiiiiil,comdat
	.globl	_ZN2at6native12_GLOBAL__N_126atomicadaptivemaxgradinputIN3c104HalfEEEvPT_PKS5_PKliiiiiil ; -- Begin function _ZN2at6native12_GLOBAL__N_126atomicadaptivemaxgradinputIN3c104HalfEEEvPT_PKS5_PKliiiiiil
	.p2align	8
	.type	_ZN2at6native12_GLOBAL__N_126atomicadaptivemaxgradinputIN3c104HalfEEEvPT_PKS5_PKliiiiiil,@function
_ZN2at6native12_GLOBAL__N_126atomicadaptivemaxgradinputIN3c104HalfEEEvPT_PKS5_PKliiiiiil: ; @_ZN2at6native12_GLOBAL__N_126atomicadaptivemaxgradinputIN3c104HalfEEEvPT_PKS5_PKliiiiiil
; %bb.0:
	s_load_b256 s[4:11], s[0:1], 0x18
	s_waitcnt lgkmcnt(0)
	s_add_u32 s2, s14, s10
	s_addc_u32 s3, 0, s11
	s_ashr_i32 s11, s7, 31
	s_mov_b32 s10, s7
	s_delay_alu instid0(SALU_CYCLE_1) | instskip(SKIP_1) | instid1(SALU_CYCLE_1)
	s_or_b64 s[12:13], s[2:3], s[10:11]
	s_mov_b32 s12, 0
	s_cmp_lg_u64 s[12:13], 0
	s_cbranch_scc0 .LBB6_16
; %bb.1:
	s_add_u32 s18, s10, s11
	s_mov_b32 s16, s11
	s_mov_b32 s17, s11
	s_addc_u32 s19, s11, s11
	s_delay_alu instid0(SALU_CYCLE_1) | instskip(NEXT) | instid1(SALU_CYCLE_1)
	s_xor_b64 s[18:19], s[18:19], s[16:17]
	v_cvt_f32_u32_e32 v1, s18
	v_cvt_f32_u32_e32 v2, s19
	s_sub_u32 s13, 0, s18
	s_subb_u32 s14, 0, s19
	s_delay_alu instid0(VALU_DEP_1) | instskip(NEXT) | instid1(VALU_DEP_1)
	v_fmamk_f32 v1, v2, 0x4f800000, v1
	v_rcp_f32_e32 v1, v1
	s_waitcnt_depctr 0xfff
	v_mul_f32_e32 v1, 0x5f7ffffc, v1
	s_delay_alu instid0(VALU_DEP_1) | instskip(NEXT) | instid1(VALU_DEP_1)
	v_mul_f32_e32 v2, 0x2f800000, v1
	v_trunc_f32_e32 v2, v2
	s_delay_alu instid0(VALU_DEP_1) | instskip(SKIP_1) | instid1(VALU_DEP_2)
	v_fmamk_f32 v1, v2, 0xcf800000, v1
	v_cvt_u32_f32_e32 v2, v2
	v_cvt_u32_f32_e32 v1, v1
	s_delay_alu instid0(VALU_DEP_2) | instskip(NEXT) | instid1(VALU_DEP_2)
	v_readfirstlane_b32 s7, v2
	v_readfirstlane_b32 s11, v1
	s_delay_alu instid0(VALU_DEP_2) | instskip(NEXT) | instid1(VALU_DEP_1)
	s_mul_i32 s20, s13, s7
	s_mul_hi_u32 s22, s13, s11
	s_mul_i32 s21, s14, s11
	s_add_i32 s20, s22, s20
	s_mul_i32 s23, s13, s11
	s_add_i32 s20, s20, s21
	s_mul_hi_u32 s22, s11, s23
	s_mul_hi_u32 s24, s7, s23
	s_mul_i32 s21, s7, s23
	s_mul_hi_u32 s23, s11, s20
	s_mul_i32 s11, s11, s20
	s_mul_hi_u32 s25, s7, s20
	s_add_u32 s11, s22, s11
	s_addc_u32 s22, 0, s23
	s_add_u32 s11, s11, s21
	s_mul_i32 s20, s7, s20
	s_addc_u32 s11, s22, s24
	s_addc_u32 s21, s25, 0
	s_add_u32 s11, s11, s20
	s_addc_u32 s20, 0, s21
	v_add_co_u32 v1, s11, v1, s11
	s_delay_alu instid0(VALU_DEP_1) | instskip(SKIP_1) | instid1(VALU_DEP_1)
	s_cmp_lg_u32 s11, 0
	s_addc_u32 s7, s7, s20
	v_readfirstlane_b32 s11, v1
	s_mul_i32 s20, s13, s7
	s_delay_alu instid0(VALU_DEP_1)
	s_mul_hi_u32 s21, s13, s11
	s_mul_i32 s14, s14, s11
	s_add_i32 s20, s21, s20
	s_mul_i32 s13, s13, s11
	s_add_i32 s20, s20, s14
	s_mul_hi_u32 s21, s7, s13
	s_mul_i32 s22, s7, s13
	s_mul_hi_u32 s13, s11, s13
	s_mul_hi_u32 s23, s11, s20
	s_mul_i32 s11, s11, s20
	s_mul_hi_u32 s14, s7, s20
	s_add_u32 s11, s13, s11
	s_addc_u32 s13, 0, s23
	s_add_u32 s11, s11, s22
	s_mul_i32 s20, s7, s20
	s_addc_u32 s11, s13, s21
	s_addc_u32 s13, s14, 0
	s_add_u32 s11, s11, s20
	s_addc_u32 s13, 0, s13
	v_add_co_u32 v1, s11, v1, s11
	s_delay_alu instid0(VALU_DEP_1) | instskip(SKIP_2) | instid1(VALU_DEP_1)
	s_cmp_lg_u32 s11, 0
	s_addc_u32 s7, s7, s13
	s_ashr_i32 s20, s3, 31
	v_readfirstlane_b32 s11, v1
	s_add_u32 s22, s2, s20
	s_mov_b32 s21, s20
	s_addc_u32 s23, s3, s20
	s_delay_alu instid0(SALU_CYCLE_1) | instskip(NEXT) | instid1(SALU_CYCLE_1)
	s_xor_b64 s[22:23], s[22:23], s[20:21]
	s_mul_i32 s14, s22, s7
	s_mul_hi_u32 s24, s22, s11
	s_mul_hi_u32 s13, s22, s7
	;; [unrolled: 1-line block ×3, first 2 shown]
	s_mul_i32 s11, s23, s11
	s_add_u32 s14, s24, s14
	s_addc_u32 s13, 0, s13
	s_mul_hi_u32 s25, s23, s7
	s_add_u32 s11, s14, s11
	s_mul_i32 s7, s23, s7
	s_addc_u32 s11, s13, s26
	s_addc_u32 s13, s25, 0
	s_add_u32 s7, s11, s7
	s_addc_u32 s11, 0, s13
	s_mul_i32 s25, s18, s7
	s_mul_hi_u32 s13, s18, s7
	s_mul_i32 s24, s18, s11
	v_sub_co_u32 v1, s22, s22, s25
	s_mul_i32 s14, s19, s7
	s_add_i32 s13, s13, s24
	s_delay_alu instid0(SALU_CYCLE_1) | instskip(NEXT) | instid1(VALU_DEP_1)
	s_add_i32 s13, s13, s14
	v_sub_co_u32 v2, s24, v1, s18
	s_sub_i32 s14, s23, s13
	s_cmp_lg_u32 s22, 0
	s_subb_u32 s14, s14, s19
	s_cmp_lg_u32 s24, 0
	v_readfirstlane_b32 s24, v2
	s_subb_u32 s14, s14, 0
	s_delay_alu instid0(SALU_CYCLE_1) | instskip(SKIP_1) | instid1(VALU_DEP_1)
	s_cmp_ge_u32 s14, s19
	s_cselect_b32 s25, -1, 0
	s_cmp_ge_u32 s24, s18
	s_cselect_b32 s24, -1, 0
	s_cmp_eq_u32 s14, s19
	s_cselect_b32 s14, s24, s25
	s_add_u32 s24, s7, 1
	s_addc_u32 s25, s11, 0
	s_add_u32 s26, s7, 2
	s_addc_u32 s27, s11, 0
	s_cmp_lg_u32 s14, 0
	s_cselect_b32 s14, s26, s24
	s_cselect_b32 s24, s27, s25
	s_cmp_lg_u32 s22, 0
	v_readfirstlane_b32 s22, v1
	s_subb_u32 s13, s23, s13
	s_delay_alu instid0(SALU_CYCLE_1) | instskip(SKIP_1) | instid1(VALU_DEP_1)
	s_cmp_ge_u32 s13, s19
	s_cselect_b32 s23, -1, 0
	s_cmp_ge_u32 s22, s18
	s_cselect_b32 s18, -1, 0
	s_cmp_eq_u32 s13, s19
	s_cselect_b32 s13, s18, s23
	s_delay_alu instid0(SALU_CYCLE_1) | instskip(SKIP_3) | instid1(SALU_CYCLE_1)
	s_cmp_lg_u32 s13, 0
	s_cselect_b32 s19, s24, s11
	s_cselect_b32 s18, s14, s7
	s_xor_b64 s[16:17], s[20:21], s[16:17]
	s_xor_b64 s[18:19], s[18:19], s[16:17]
	s_delay_alu instid0(SALU_CYCLE_1)
	s_sub_u32 s16, s18, s16
	s_load_b32 s17, s[0:1], 0x44
	s_and_not1_b32 vcc_lo, exec_lo, s12
	s_cbranch_vccnz .LBB6_3
.LBB6_2:
	v_cvt_f32_u32_e32 v1, s10
	s_sub_i32 s11, 0, s10
	s_delay_alu instid0(VALU_DEP_1) | instskip(SKIP_2) | instid1(VALU_DEP_1)
	v_rcp_iflag_f32_e32 v1, v1
	s_waitcnt_depctr 0xfff
	v_mul_f32_e32 v1, 0x4f7ffffe, v1
	v_cvt_u32_f32_e32 v1, v1
	s_delay_alu instid0(VALU_DEP_1) | instskip(NEXT) | instid1(VALU_DEP_1)
	v_readfirstlane_b32 s7, v1
	s_mul_i32 s11, s11, s7
	s_delay_alu instid0(SALU_CYCLE_1) | instskip(NEXT) | instid1(SALU_CYCLE_1)
	s_mul_hi_u32 s11, s7, s11
	s_add_i32 s7, s7, s11
	s_delay_alu instid0(SALU_CYCLE_1) | instskip(NEXT) | instid1(SALU_CYCLE_1)
	s_mul_hi_u32 s7, s2, s7
	s_mul_i32 s11, s7, s10
	s_add_i32 s12, s7, 1
	s_sub_i32 s11, s2, s11
	s_delay_alu instid0(SALU_CYCLE_1)
	s_sub_i32 s13, s11, s10
	s_cmp_ge_u32 s11, s10
	s_cselect_b32 s7, s12, s7
	s_cselect_b32 s11, s13, s11
	s_add_i32 s12, s7, 1
	s_cmp_ge_u32 s11, s10
	s_cselect_b32 s16, s12, s7
.LBB6_3:
	v_bfe_u32 v3, v0, 10, 10
	s_waitcnt lgkmcnt(0)
	s_lshr_b32 s7, s17, 16
	s_mov_b32 s10, exec_lo
	s_delay_alu instid0(VALU_DEP_1) | instskip(NEXT) | instid1(VALU_DEP_1)
	v_mad_u64_u32 v[1:2], null, s15, s7, v[3:4]
	v_cmpx_gt_i32_e64 s8, v1
	s_cbranch_execz .LBB6_15
; %bb.4:
	s_clause 0x2
	s_load_b128 s[12:15], s[0:1], 0x0
	s_load_b32 s18, s[0:1], 0x3c
	s_load_b64 s[0:1], s[0:1], 0x10
	s_mul_i32 s4, s5, s4
	s_mul_i32 s11, s9, s8
	;; [unrolled: 1-line block ×3, first 2 shown]
	s_mul_hi_i32 s10, s9, s8
	s_mul_i32 s4, s4, s16
	s_mul_i32 s6, s11, s3
	s_ashr_i32 s5, s4, 31
	s_mul_hi_u32 s16, s11, s2
	s_lshl_b64 s[4:5], s[4:5], 1
	s_mul_i32 s19, s10, s2
	v_dual_mov_b32 v3, 0 :: v_dual_and_b32 v0, 0x3ff, v0
	s_mul_i32 s10, s11, s2
	s_delay_alu instid0(VALU_DEP_1)
	v_cmp_gt_i32_e32 vcc_lo, s9, v0
	s_waitcnt lgkmcnt(0)
	s_add_u32 s3, s12, s4
	s_addc_u32 s4, s13, s5
	s_add_i32 s5, s16, s6
	s_mul_i32 s7, s18, s7
	s_add_i32 s11, s5, s19
	s_delay_alu instid0(SALU_CYCLE_1) | instskip(NEXT) | instid1(SALU_CYCLE_1)
	s_lshl_b64 s[12:13], s[10:11], 1
	s_add_u32 s5, s14, s12
	s_addc_u32 s6, s15, s13
	s_lshl_b64 s[10:11], s[10:11], 3
	s_mov_b32 s13, 0
	s_add_u32 s10, s0, s10
	s_addc_u32 s11, s1, s11
	s_and_b32 s12, s17, 0xffff
	s_branch .LBB6_6
.LBB6_5:                                ;   in Loop: Header=BB6_6 Depth=1
	s_or_b32 exec_lo, exec_lo, s14
	v_add_nc_u32_e32 v1, s7, v1
	s_delay_alu instid0(VALU_DEP_1) | instskip(NEXT) | instid1(VALU_DEP_1)
	v_cmp_le_i32_e64 s0, s8, v1
	s_or_b32 s13, s0, s13
	s_delay_alu instid0(SALU_CYCLE_1)
	s_and_not1_b32 exec_lo, exec_lo, s13
	s_cbranch_execz .LBB6_15
.LBB6_6:                                ; =>This Loop Header: Depth=1
                                        ;     Child Loop BB6_9 Depth 2
                                        ;       Child Loop BB6_11 Depth 3
	s_and_saveexec_b32 s14, vcc_lo
	s_cbranch_execz .LBB6_5
; %bb.7:                                ;   in Loop: Header=BB6_6 Depth=1
	v_mul_lo_u32 v4, v1, s9
	v_mov_b32_e32 v2, v0
	s_mov_b32 s15, 0
	s_delay_alu instid0(VALU_DEP_2) | instskip(NEXT) | instid1(VALU_DEP_1)
	v_ashrrev_i32_e32 v5, 31, v4
	v_lshlrev_b64 v[6:7], 1, v[4:5]
	v_lshlrev_b64 v[4:5], 3, v[4:5]
	s_delay_alu instid0(VALU_DEP_2) | instskip(NEXT) | instid1(VALU_DEP_1)
	v_add_co_u32 v8, s0, s5, v6
	v_add_co_ci_u32_e64 v9, s0, s6, v7, s0
	s_delay_alu instid0(VALU_DEP_3) | instskip(NEXT) | instid1(VALU_DEP_1)
	v_add_co_u32 v10, s0, s10, v4
	v_add_co_ci_u32_e64 v11, s0, s11, v5, s0
	s_branch .LBB6_9
.LBB6_8:                                ;   in Loop: Header=BB6_9 Depth=2
	s_set_inst_prefetch_distance 0x2
	s_or_b32 exec_lo, exec_lo, s16
	v_add_nc_u32_e32 v2, s12, v2
	s_delay_alu instid0(VALU_DEP_1) | instskip(NEXT) | instid1(VALU_DEP_1)
	v_cmp_le_i32_e64 s0, s9, v2
	s_or_b32 s15, s0, s15
	s_delay_alu instid0(SALU_CYCLE_1)
	s_and_not1_b32 exec_lo, exec_lo, s15
	s_cbranch_execz .LBB6_5
.LBB6_9:                                ;   Parent Loop BB6_6 Depth=1
                                        ; =>  This Loop Header: Depth=2
                                        ;       Child Loop BB6_11 Depth 3
	v_lshlrev_b64 v[4:5], 3, v[2:3]
	v_lshlrev_b64 v[6:7], 1, v[2:3]
	s_mov_b32 s16, 0
	v_mov_b32_e32 v14, v3
	s_delay_alu instid0(VALU_DEP_3) | instskip(NEXT) | instid1(VALU_DEP_1)
	v_add_co_u32 v4, s0, v10, v4
	v_add_co_ci_u32_e64 v5, s0, v11, v5, s0
	s_delay_alu instid0(VALU_DEP_4) | instskip(NEXT) | instid1(VALU_DEP_1)
	v_add_co_u32 v6, s1, v8, v6
	v_add_co_ci_u32_e64 v7, s1, v9, v7, s1
	global_load_b64 v[4:5], v[4:5], off
	s_waitcnt vmcnt(0)
	v_lshlrev_b64 v[4:5], 1, v[4:5]
	s_delay_alu instid0(VALU_DEP_1) | instskip(NEXT) | instid1(VALU_DEP_1)
	v_add_co_u32 v13, s0, s3, v4
	v_add_co_ci_u32_e64 v5, s0, s4, v5, s0
	s_delay_alu instid0(VALU_DEP_2)
	v_and_b32_e32 v4, -3, v13
	v_and_b32_e32 v13, 2, v13
	global_load_u16 v12, v[6:7], off
	global_load_b32 v7, v[4:5], off
	v_cmp_eq_u64_e64 s0, 0, v[13:14]
	v_cmp_ne_u32_e64 s1, 0, v13
	s_set_inst_prefetch_distance 0x1
	s_branch .LBB6_11
	.p2align	6
.LBB6_10:                               ;   in Loop: Header=BB6_11 Depth=3
	s_or_b32 exec_lo, exec_lo, s2
	global_atomic_cmpswap_b32 v6, v[4:5], v[6:7], off glc
	s_waitcnt vmcnt(0)
	v_cmp_eq_u32_e64 s2, v7, v6
	v_mov_b32_e32 v7, v6
	s_delay_alu instid0(VALU_DEP_2) | instskip(NEXT) | instid1(SALU_CYCLE_1)
	s_or_b32 s16, s2, s16
	s_and_not1_b32 exec_lo, exec_lo, s16
	s_cbranch_execz .LBB6_8
.LBB6_11:                               ;   Parent Loop BB6_6 Depth=1
                                        ;     Parent Loop BB6_9 Depth=2
                                        ; =>    This Inner Loop Header: Depth=3
	s_waitcnt vmcnt(0)
	v_lshrrev_b32_e32 v6, 16, v7
	s_delay_alu instid0(VALU_DEP_1) | instskip(NEXT) | instid1(VALU_DEP_1)
	v_cndmask_b32_e64 v6, v6, v7, s0
	v_add_f16_e32 v6, v12, v6
	s_delay_alu instid0(VALU_DEP_1) | instskip(SKIP_1) | instid1(SALU_CYCLE_1)
	v_and_b32_e32 v13, 0xffff, v6
	s_and_saveexec_b32 s2, s1
	s_xor_b32 s2, exec_lo, s2
; %bb.12:                               ;   in Loop: Header=BB6_11 Depth=3
	v_and_b32_e32 v6, 0xffff, v7
	s_delay_alu instid0(VALU_DEP_1)
	v_lshl_or_b32 v6, v13, 16, v6
                                        ; implicit-def: $vgpr13
; %bb.13:                               ;   in Loop: Header=BB6_11 Depth=3
	s_and_not1_saveexec_b32 s2, s2
	s_cbranch_execz .LBB6_10
; %bb.14:                               ;   in Loop: Header=BB6_11 Depth=3
	v_and_or_b32 v6, 0xffff0000, v7, v13
	s_branch .LBB6_10
.LBB6_15:
	s_endpgm
.LBB6_16:
                                        ; implicit-def: $sgpr16_sgpr17
	s_load_b32 s17, s[0:1], 0x44
	s_branch .LBB6_2
	.section	.rodata,"a",@progbits
	.p2align	6, 0x0
	.amdhsa_kernel _ZN2at6native12_GLOBAL__N_126atomicadaptivemaxgradinputIN3c104HalfEEEvPT_PKS5_PKliiiiiil
		.amdhsa_group_segment_fixed_size 0
		.amdhsa_private_segment_fixed_size 0
		.amdhsa_kernarg_size 312
		.amdhsa_user_sgpr_count 14
		.amdhsa_user_sgpr_dispatch_ptr 0
		.amdhsa_user_sgpr_queue_ptr 0
		.amdhsa_user_sgpr_kernarg_segment_ptr 1
		.amdhsa_user_sgpr_dispatch_id 0
		.amdhsa_user_sgpr_private_segment_size 0
		.amdhsa_wavefront_size32 1
		.amdhsa_uses_dynamic_stack 0
		.amdhsa_enable_private_segment 0
		.amdhsa_system_sgpr_workgroup_id_x 1
		.amdhsa_system_sgpr_workgroup_id_y 1
		.amdhsa_system_sgpr_workgroup_id_z 0
		.amdhsa_system_sgpr_workgroup_info 0
		.amdhsa_system_vgpr_workitem_id 1
		.amdhsa_next_free_vgpr 15
		.amdhsa_next_free_sgpr 28
		.amdhsa_reserve_vcc 1
		.amdhsa_float_round_mode_32 0
		.amdhsa_float_round_mode_16_64 0
		.amdhsa_float_denorm_mode_32 3
		.amdhsa_float_denorm_mode_16_64 3
		.amdhsa_dx10_clamp 1
		.amdhsa_ieee_mode 1
		.amdhsa_fp16_overflow 0
		.amdhsa_workgroup_processor_mode 1
		.amdhsa_memory_ordered 1
		.amdhsa_forward_progress 0
		.amdhsa_shared_vgpr_count 0
		.amdhsa_exception_fp_ieee_invalid_op 0
		.amdhsa_exception_fp_denorm_src 0
		.amdhsa_exception_fp_ieee_div_zero 0
		.amdhsa_exception_fp_ieee_overflow 0
		.amdhsa_exception_fp_ieee_underflow 0
		.amdhsa_exception_fp_ieee_inexact 0
		.amdhsa_exception_int_div_zero 0
	.end_amdhsa_kernel
	.section	.text._ZN2at6native12_GLOBAL__N_126atomicadaptivemaxgradinputIN3c104HalfEEEvPT_PKS5_PKliiiiiil,"axG",@progbits,_ZN2at6native12_GLOBAL__N_126atomicadaptivemaxgradinputIN3c104HalfEEEvPT_PKS5_PKliiiiiil,comdat
.Lfunc_end6:
	.size	_ZN2at6native12_GLOBAL__N_126atomicadaptivemaxgradinputIN3c104HalfEEEvPT_PKS5_PKliiiiiil, .Lfunc_end6-_ZN2at6native12_GLOBAL__N_126atomicadaptivemaxgradinputIN3c104HalfEEEvPT_PKS5_PKliiiiiil
                                        ; -- End function
	.section	.AMDGPU.csdata,"",@progbits
; Kernel info:
; codeLenInByte = 1456
; NumSgprs: 30
; NumVgprs: 15
; ScratchSize: 0
; MemoryBound: 0
; FloatMode: 240
; IeeeMode: 1
; LDSByteSize: 0 bytes/workgroup (compile time only)
; SGPRBlocks: 3
; VGPRBlocks: 1
; NumSGPRsForWavesPerEU: 30
; NumVGPRsForWavesPerEU: 15
; Occupancy: 16
; WaveLimiterHint : 1
; COMPUTE_PGM_RSRC2:SCRATCH_EN: 0
; COMPUTE_PGM_RSRC2:USER_SGPR: 14
; COMPUTE_PGM_RSRC2:TRAP_HANDLER: 0
; COMPUTE_PGM_RSRC2:TGID_X_EN: 1
; COMPUTE_PGM_RSRC2:TGID_Y_EN: 1
; COMPUTE_PGM_RSRC2:TGID_Z_EN: 0
; COMPUTE_PGM_RSRC2:TIDIG_COMP_CNT: 1
	.section	.text._ZN2at6native12_GLOBAL__N_126atomicadaptivemaxgradinputIN3c108BFloat16EEEvPT_PKS5_PKliiiiiil,"axG",@progbits,_ZN2at6native12_GLOBAL__N_126atomicadaptivemaxgradinputIN3c108BFloat16EEEvPT_PKS5_PKliiiiiil,comdat
	.globl	_ZN2at6native12_GLOBAL__N_126atomicadaptivemaxgradinputIN3c108BFloat16EEEvPT_PKS5_PKliiiiiil ; -- Begin function _ZN2at6native12_GLOBAL__N_126atomicadaptivemaxgradinputIN3c108BFloat16EEEvPT_PKS5_PKliiiiiil
	.p2align	8
	.type	_ZN2at6native12_GLOBAL__N_126atomicadaptivemaxgradinputIN3c108BFloat16EEEvPT_PKS5_PKliiiiiil,@function
_ZN2at6native12_GLOBAL__N_126atomicadaptivemaxgradinputIN3c108BFloat16EEEvPT_PKS5_PKliiiiiil: ; @_ZN2at6native12_GLOBAL__N_126atomicadaptivemaxgradinputIN3c108BFloat16EEEvPT_PKS5_PKliiiiiil
; %bb.0:
	s_load_b256 s[4:11], s[0:1], 0x18
	s_waitcnt lgkmcnt(0)
	s_add_u32 s2, s14, s10
	s_addc_u32 s3, 0, s11
	s_ashr_i32 s11, s7, 31
	s_mov_b32 s10, s7
	s_delay_alu instid0(SALU_CYCLE_1) | instskip(SKIP_1) | instid1(SALU_CYCLE_1)
	s_or_b64 s[12:13], s[2:3], s[10:11]
	s_mov_b32 s12, 0
	s_cmp_lg_u64 s[12:13], 0
	s_cbranch_scc0 .LBB7_16
; %bb.1:
	s_add_u32 s18, s10, s11
	s_mov_b32 s16, s11
	s_mov_b32 s17, s11
	s_addc_u32 s19, s11, s11
	s_delay_alu instid0(SALU_CYCLE_1) | instskip(NEXT) | instid1(SALU_CYCLE_1)
	s_xor_b64 s[18:19], s[18:19], s[16:17]
	v_cvt_f32_u32_e32 v1, s18
	v_cvt_f32_u32_e32 v2, s19
	s_sub_u32 s13, 0, s18
	s_subb_u32 s14, 0, s19
	s_delay_alu instid0(VALU_DEP_1) | instskip(NEXT) | instid1(VALU_DEP_1)
	v_fmamk_f32 v1, v2, 0x4f800000, v1
	v_rcp_f32_e32 v1, v1
	s_waitcnt_depctr 0xfff
	v_mul_f32_e32 v1, 0x5f7ffffc, v1
	s_delay_alu instid0(VALU_DEP_1) | instskip(NEXT) | instid1(VALU_DEP_1)
	v_mul_f32_e32 v2, 0x2f800000, v1
	v_trunc_f32_e32 v2, v2
	s_delay_alu instid0(VALU_DEP_1) | instskip(SKIP_1) | instid1(VALU_DEP_2)
	v_fmamk_f32 v1, v2, 0xcf800000, v1
	v_cvt_u32_f32_e32 v2, v2
	v_cvt_u32_f32_e32 v1, v1
	s_delay_alu instid0(VALU_DEP_2) | instskip(NEXT) | instid1(VALU_DEP_2)
	v_readfirstlane_b32 s7, v2
	v_readfirstlane_b32 s11, v1
	s_delay_alu instid0(VALU_DEP_2) | instskip(NEXT) | instid1(VALU_DEP_1)
	s_mul_i32 s20, s13, s7
	s_mul_hi_u32 s22, s13, s11
	s_mul_i32 s21, s14, s11
	s_add_i32 s20, s22, s20
	s_mul_i32 s23, s13, s11
	s_add_i32 s20, s20, s21
	s_mul_hi_u32 s22, s11, s23
	s_mul_hi_u32 s24, s7, s23
	s_mul_i32 s21, s7, s23
	s_mul_hi_u32 s23, s11, s20
	s_mul_i32 s11, s11, s20
	s_mul_hi_u32 s25, s7, s20
	s_add_u32 s11, s22, s11
	s_addc_u32 s22, 0, s23
	s_add_u32 s11, s11, s21
	s_mul_i32 s20, s7, s20
	s_addc_u32 s11, s22, s24
	s_addc_u32 s21, s25, 0
	s_add_u32 s11, s11, s20
	s_addc_u32 s20, 0, s21
	v_add_co_u32 v1, s11, v1, s11
	s_delay_alu instid0(VALU_DEP_1) | instskip(SKIP_1) | instid1(VALU_DEP_1)
	s_cmp_lg_u32 s11, 0
	s_addc_u32 s7, s7, s20
	v_readfirstlane_b32 s11, v1
	s_mul_i32 s20, s13, s7
	s_delay_alu instid0(VALU_DEP_1)
	s_mul_hi_u32 s21, s13, s11
	s_mul_i32 s14, s14, s11
	s_add_i32 s20, s21, s20
	s_mul_i32 s13, s13, s11
	s_add_i32 s20, s20, s14
	s_mul_hi_u32 s21, s7, s13
	s_mul_i32 s22, s7, s13
	s_mul_hi_u32 s13, s11, s13
	s_mul_hi_u32 s23, s11, s20
	s_mul_i32 s11, s11, s20
	s_mul_hi_u32 s14, s7, s20
	s_add_u32 s11, s13, s11
	s_addc_u32 s13, 0, s23
	s_add_u32 s11, s11, s22
	s_mul_i32 s20, s7, s20
	s_addc_u32 s11, s13, s21
	s_addc_u32 s13, s14, 0
	s_add_u32 s11, s11, s20
	s_addc_u32 s13, 0, s13
	v_add_co_u32 v1, s11, v1, s11
	s_delay_alu instid0(VALU_DEP_1) | instskip(SKIP_2) | instid1(VALU_DEP_1)
	s_cmp_lg_u32 s11, 0
	s_addc_u32 s7, s7, s13
	s_ashr_i32 s20, s3, 31
	v_readfirstlane_b32 s11, v1
	s_add_u32 s22, s2, s20
	s_mov_b32 s21, s20
	s_addc_u32 s23, s3, s20
	s_delay_alu instid0(SALU_CYCLE_1) | instskip(NEXT) | instid1(SALU_CYCLE_1)
	s_xor_b64 s[22:23], s[22:23], s[20:21]
	s_mul_i32 s14, s22, s7
	s_mul_hi_u32 s24, s22, s11
	s_mul_hi_u32 s13, s22, s7
	;; [unrolled: 1-line block ×3, first 2 shown]
	s_mul_i32 s11, s23, s11
	s_add_u32 s14, s24, s14
	s_addc_u32 s13, 0, s13
	s_mul_hi_u32 s25, s23, s7
	s_add_u32 s11, s14, s11
	s_mul_i32 s7, s23, s7
	s_addc_u32 s11, s13, s26
	s_addc_u32 s13, s25, 0
	s_add_u32 s7, s11, s7
	s_addc_u32 s11, 0, s13
	s_mul_i32 s25, s18, s7
	s_mul_hi_u32 s13, s18, s7
	s_mul_i32 s24, s18, s11
	v_sub_co_u32 v1, s22, s22, s25
	s_mul_i32 s14, s19, s7
	s_add_i32 s13, s13, s24
	s_delay_alu instid0(SALU_CYCLE_1) | instskip(NEXT) | instid1(VALU_DEP_1)
	s_add_i32 s13, s13, s14
	v_sub_co_u32 v2, s24, v1, s18
	s_sub_i32 s14, s23, s13
	s_cmp_lg_u32 s22, 0
	s_subb_u32 s14, s14, s19
	s_cmp_lg_u32 s24, 0
	v_readfirstlane_b32 s24, v2
	s_subb_u32 s14, s14, 0
	s_delay_alu instid0(SALU_CYCLE_1) | instskip(SKIP_1) | instid1(VALU_DEP_1)
	s_cmp_ge_u32 s14, s19
	s_cselect_b32 s25, -1, 0
	s_cmp_ge_u32 s24, s18
	s_cselect_b32 s24, -1, 0
	s_cmp_eq_u32 s14, s19
	s_cselect_b32 s14, s24, s25
	s_add_u32 s24, s7, 1
	s_addc_u32 s25, s11, 0
	s_add_u32 s26, s7, 2
	s_addc_u32 s27, s11, 0
	s_cmp_lg_u32 s14, 0
	s_cselect_b32 s14, s26, s24
	s_cselect_b32 s24, s27, s25
	s_cmp_lg_u32 s22, 0
	v_readfirstlane_b32 s22, v1
	s_subb_u32 s13, s23, s13
	s_delay_alu instid0(SALU_CYCLE_1) | instskip(SKIP_1) | instid1(VALU_DEP_1)
	s_cmp_ge_u32 s13, s19
	s_cselect_b32 s23, -1, 0
	s_cmp_ge_u32 s22, s18
	s_cselect_b32 s18, -1, 0
	s_cmp_eq_u32 s13, s19
	s_cselect_b32 s13, s18, s23
	s_delay_alu instid0(SALU_CYCLE_1) | instskip(SKIP_3) | instid1(SALU_CYCLE_1)
	s_cmp_lg_u32 s13, 0
	s_cselect_b32 s19, s24, s11
	s_cselect_b32 s18, s14, s7
	s_xor_b64 s[16:17], s[20:21], s[16:17]
	s_xor_b64 s[18:19], s[18:19], s[16:17]
	s_delay_alu instid0(SALU_CYCLE_1)
	s_sub_u32 s16, s18, s16
	s_load_b32 s17, s[0:1], 0x44
	s_and_not1_b32 vcc_lo, exec_lo, s12
	s_cbranch_vccnz .LBB7_3
.LBB7_2:
	v_cvt_f32_u32_e32 v1, s10
	s_sub_i32 s11, 0, s10
	s_delay_alu instid0(VALU_DEP_1) | instskip(SKIP_2) | instid1(VALU_DEP_1)
	v_rcp_iflag_f32_e32 v1, v1
	s_waitcnt_depctr 0xfff
	v_mul_f32_e32 v1, 0x4f7ffffe, v1
	v_cvt_u32_f32_e32 v1, v1
	s_delay_alu instid0(VALU_DEP_1) | instskip(NEXT) | instid1(VALU_DEP_1)
	v_readfirstlane_b32 s7, v1
	s_mul_i32 s11, s11, s7
	s_delay_alu instid0(SALU_CYCLE_1) | instskip(NEXT) | instid1(SALU_CYCLE_1)
	s_mul_hi_u32 s11, s7, s11
	s_add_i32 s7, s7, s11
	s_delay_alu instid0(SALU_CYCLE_1) | instskip(NEXT) | instid1(SALU_CYCLE_1)
	s_mul_hi_u32 s7, s2, s7
	s_mul_i32 s11, s7, s10
	s_add_i32 s12, s7, 1
	s_sub_i32 s11, s2, s11
	s_delay_alu instid0(SALU_CYCLE_1)
	s_sub_i32 s13, s11, s10
	s_cmp_ge_u32 s11, s10
	s_cselect_b32 s7, s12, s7
	s_cselect_b32 s11, s13, s11
	s_add_i32 s12, s7, 1
	s_cmp_ge_u32 s11, s10
	s_cselect_b32 s16, s12, s7
.LBB7_3:
	v_bfe_u32 v3, v0, 10, 10
	s_waitcnt lgkmcnt(0)
	s_lshr_b32 s7, s17, 16
	s_mov_b32 s10, exec_lo
	s_delay_alu instid0(VALU_DEP_1) | instskip(NEXT) | instid1(VALU_DEP_1)
	v_mad_u64_u32 v[1:2], null, s15, s7, v[3:4]
	v_cmpx_gt_i32_e64 s8, v1
	s_cbranch_execz .LBB7_15
; %bb.4:
	s_clause 0x2
	s_load_b128 s[12:15], s[0:1], 0x0
	s_load_b32 s18, s[0:1], 0x3c
	s_load_b64 s[0:1], s[0:1], 0x10
	s_mul_i32 s4, s5, s4
	s_mul_i32 s11, s9, s8
	s_mul_i32 s4, s4, s6
	s_mul_hi_i32 s10, s9, s8
	s_mul_i32 s4, s4, s16
	s_mul_i32 s6, s11, s3
	s_ashr_i32 s5, s4, 31
	s_mul_hi_u32 s16, s11, s2
	s_lshl_b64 s[4:5], s[4:5], 1
	s_mul_i32 s19, s10, s2
	v_dual_mov_b32 v3, 0 :: v_dual_and_b32 v0, 0x3ff, v0
	s_mul_i32 s10, s11, s2
	s_delay_alu instid0(VALU_DEP_1)
	v_cmp_gt_i32_e32 vcc_lo, s9, v0
	s_waitcnt lgkmcnt(0)
	s_add_u32 s3, s12, s4
	s_addc_u32 s4, s13, s5
	s_add_i32 s5, s16, s6
	s_mul_i32 s7, s18, s7
	s_add_i32 s11, s5, s19
	s_delay_alu instid0(SALU_CYCLE_1) | instskip(NEXT) | instid1(SALU_CYCLE_1)
	s_lshl_b64 s[12:13], s[10:11], 1
	s_add_u32 s5, s14, s12
	s_addc_u32 s6, s15, s13
	s_lshl_b64 s[10:11], s[10:11], 3
	s_mov_b32 s13, 0
	s_add_u32 s10, s0, s10
	s_addc_u32 s11, s1, s11
	s_and_b32 s12, s17, 0xffff
	s_branch .LBB7_6
.LBB7_5:                                ;   in Loop: Header=BB7_6 Depth=1
	s_or_b32 exec_lo, exec_lo, s14
	v_add_nc_u32_e32 v1, s7, v1
	s_delay_alu instid0(VALU_DEP_1) | instskip(NEXT) | instid1(VALU_DEP_1)
	v_cmp_le_i32_e64 s0, s8, v1
	s_or_b32 s13, s0, s13
	s_delay_alu instid0(SALU_CYCLE_1)
	s_and_not1_b32 exec_lo, exec_lo, s13
	s_cbranch_execz .LBB7_15
.LBB7_6:                                ; =>This Loop Header: Depth=1
                                        ;     Child Loop BB7_9 Depth 2
                                        ;       Child Loop BB7_11 Depth 3
	s_and_saveexec_b32 s14, vcc_lo
	s_cbranch_execz .LBB7_5
; %bb.7:                                ;   in Loop: Header=BB7_6 Depth=1
	v_mul_lo_u32 v4, v1, s9
	v_mov_b32_e32 v2, v0
	s_mov_b32 s15, 0
	s_delay_alu instid0(VALU_DEP_2) | instskip(NEXT) | instid1(VALU_DEP_1)
	v_ashrrev_i32_e32 v5, 31, v4
	v_lshlrev_b64 v[6:7], 1, v[4:5]
	v_lshlrev_b64 v[4:5], 3, v[4:5]
	s_delay_alu instid0(VALU_DEP_2) | instskip(NEXT) | instid1(VALU_DEP_1)
	v_add_co_u32 v8, s0, s5, v6
	v_add_co_ci_u32_e64 v9, s0, s6, v7, s0
	s_delay_alu instid0(VALU_DEP_3) | instskip(NEXT) | instid1(VALU_DEP_1)
	v_add_co_u32 v10, s0, s10, v4
	v_add_co_ci_u32_e64 v11, s0, s11, v5, s0
	s_branch .LBB7_9
.LBB7_8:                                ;   in Loop: Header=BB7_9 Depth=2
	s_set_inst_prefetch_distance 0x2
	s_or_b32 exec_lo, exec_lo, s16
	v_add_nc_u32_e32 v2, s12, v2
	s_delay_alu instid0(VALU_DEP_1) | instskip(NEXT) | instid1(VALU_DEP_1)
	v_cmp_le_i32_e64 s0, s9, v2
	s_or_b32 s15, s0, s15
	s_delay_alu instid0(SALU_CYCLE_1)
	s_and_not1_b32 exec_lo, exec_lo, s15
	s_cbranch_execz .LBB7_5
.LBB7_9:                                ;   Parent Loop BB7_6 Depth=1
                                        ; =>  This Loop Header: Depth=2
                                        ;       Child Loop BB7_11 Depth 3
	v_lshlrev_b64 v[4:5], 3, v[2:3]
	v_lshlrev_b64 v[6:7], 1, v[2:3]
	s_mov_b32 s16, 0
	v_mov_b32_e32 v13, v3
	s_delay_alu instid0(VALU_DEP_3) | instskip(NEXT) | instid1(VALU_DEP_1)
	v_add_co_u32 v4, s0, v10, v4
	v_add_co_ci_u32_e64 v5, s0, v11, v5, s0
	s_delay_alu instid0(VALU_DEP_4) | instskip(NEXT) | instid1(VALU_DEP_1)
	v_add_co_u32 v6, s1, v8, v6
	v_add_co_ci_u32_e64 v7, s1, v9, v7, s1
	global_load_b64 v[4:5], v[4:5], off
	s_waitcnt vmcnt(0)
	v_lshlrev_b64 v[4:5], 1, v[4:5]
	s_delay_alu instid0(VALU_DEP_1) | instskip(NEXT) | instid1(VALU_DEP_1)
	v_add_co_u32 v12, s0, s3, v4
	v_add_co_ci_u32_e64 v5, s0, s4, v5, s0
	s_delay_alu instid0(VALU_DEP_2)
	v_and_b32_e32 v4, -3, v12
	v_and_b32_e32 v12, 2, v12
	global_load_u16 v6, v[6:7], off
	global_load_b32 v7, v[4:5], off
	v_cmp_eq_u64_e64 s0, 0, v[12:13]
	v_cmp_ne_u32_e64 s1, 0, v12
	s_waitcnt vmcnt(1)
	v_lshlrev_b32_e32 v12, 16, v6
	s_set_inst_prefetch_distance 0x1
	s_branch .LBB7_11
	.p2align	6
.LBB7_10:                               ;   in Loop: Header=BB7_11 Depth=3
	s_or_b32 exec_lo, exec_lo, s2
	global_atomic_cmpswap_b32 v6, v[4:5], v[6:7], off glc
	s_waitcnt vmcnt(0)
	v_cmp_eq_u32_e64 s2, v7, v6
	v_mov_b32_e32 v7, v6
	s_delay_alu instid0(VALU_DEP_2) | instskip(NEXT) | instid1(SALU_CYCLE_1)
	s_or_b32 s16, s2, s16
	s_and_not1_b32 exec_lo, exec_lo, s16
	s_cbranch_execz .LBB7_8
.LBB7_11:                               ;   Parent Loop BB7_6 Depth=1
                                        ;     Parent Loop BB7_9 Depth=2
                                        ; =>    This Inner Loop Header: Depth=3
	s_waitcnt vmcnt(0)
	v_lshrrev_b32_e32 v6, 16, v7
	s_delay_alu instid0(VALU_DEP_1) | instskip(NEXT) | instid1(VALU_DEP_1)
	v_cndmask_b32_e64 v6, v6, v7, s0
	v_lshlrev_b32_e32 v6, 16, v6
	s_delay_alu instid0(VALU_DEP_1) | instskip(NEXT) | instid1(VALU_DEP_1)
	v_add_f32_e32 v6, v12, v6
	v_bfe_u32 v13, v6, 16, 1
	v_cmp_o_f32_e64 s2, v6, v6
	s_delay_alu instid0(VALU_DEP_2) | instskip(NEXT) | instid1(VALU_DEP_1)
	v_add3_u32 v13, v6, v13, 0x7fff
	v_lshrrev_b32_e32 v13, 16, v13
	s_delay_alu instid0(VALU_DEP_1) | instskip(SKIP_1) | instid1(SALU_CYCLE_1)
	v_cndmask_b32_e64 v13, 0x7fc0, v13, s2
	s_and_saveexec_b32 s2, s1
	s_xor_b32 s2, exec_lo, s2
; %bb.12:                               ;   in Loop: Header=BB7_11 Depth=3
	v_and_b32_e32 v6, 0xffff, v7
	s_delay_alu instid0(VALU_DEP_1)
	v_lshl_or_b32 v6, v13, 16, v6
                                        ; implicit-def: $vgpr13
; %bb.13:                               ;   in Loop: Header=BB7_11 Depth=3
	s_and_not1_saveexec_b32 s2, s2
	s_cbranch_execz .LBB7_10
; %bb.14:                               ;   in Loop: Header=BB7_11 Depth=3
	v_and_or_b32 v6, 0xffff0000, v7, v13
	s_branch .LBB7_10
.LBB7_15:
	s_endpgm
.LBB7_16:
                                        ; implicit-def: $sgpr16_sgpr17
	s_load_b32 s17, s[0:1], 0x44
	s_branch .LBB7_2
	.section	.rodata,"a",@progbits
	.p2align	6, 0x0
	.amdhsa_kernel _ZN2at6native12_GLOBAL__N_126atomicadaptivemaxgradinputIN3c108BFloat16EEEvPT_PKS5_PKliiiiiil
		.amdhsa_group_segment_fixed_size 0
		.amdhsa_private_segment_fixed_size 0
		.amdhsa_kernarg_size 312
		.amdhsa_user_sgpr_count 14
		.amdhsa_user_sgpr_dispatch_ptr 0
		.amdhsa_user_sgpr_queue_ptr 0
		.amdhsa_user_sgpr_kernarg_segment_ptr 1
		.amdhsa_user_sgpr_dispatch_id 0
		.amdhsa_user_sgpr_private_segment_size 0
		.amdhsa_wavefront_size32 1
		.amdhsa_uses_dynamic_stack 0
		.amdhsa_enable_private_segment 0
		.amdhsa_system_sgpr_workgroup_id_x 1
		.amdhsa_system_sgpr_workgroup_id_y 1
		.amdhsa_system_sgpr_workgroup_id_z 0
		.amdhsa_system_sgpr_workgroup_info 0
		.amdhsa_system_vgpr_workitem_id 1
		.amdhsa_next_free_vgpr 14
		.amdhsa_next_free_sgpr 28
		.amdhsa_reserve_vcc 1
		.amdhsa_float_round_mode_32 0
		.amdhsa_float_round_mode_16_64 0
		.amdhsa_float_denorm_mode_32 3
		.amdhsa_float_denorm_mode_16_64 3
		.amdhsa_dx10_clamp 1
		.amdhsa_ieee_mode 1
		.amdhsa_fp16_overflow 0
		.amdhsa_workgroup_processor_mode 1
		.amdhsa_memory_ordered 1
		.amdhsa_forward_progress 0
		.amdhsa_shared_vgpr_count 0
		.amdhsa_exception_fp_ieee_invalid_op 0
		.amdhsa_exception_fp_denorm_src 0
		.amdhsa_exception_fp_ieee_div_zero 0
		.amdhsa_exception_fp_ieee_overflow 0
		.amdhsa_exception_fp_ieee_underflow 0
		.amdhsa_exception_fp_ieee_inexact 0
		.amdhsa_exception_int_div_zero 0
	.end_amdhsa_kernel
	.section	.text._ZN2at6native12_GLOBAL__N_126atomicadaptivemaxgradinputIN3c108BFloat16EEEvPT_PKS5_PKliiiiiil,"axG",@progbits,_ZN2at6native12_GLOBAL__N_126atomicadaptivemaxgradinputIN3c108BFloat16EEEvPT_PKS5_PKliiiiiil,comdat
.Lfunc_end7:
	.size	_ZN2at6native12_GLOBAL__N_126atomicadaptivemaxgradinputIN3c108BFloat16EEEvPT_PKS5_PKliiiiiil, .Lfunc_end7-_ZN2at6native12_GLOBAL__N_126atomicadaptivemaxgradinputIN3c108BFloat16EEEvPT_PKS5_PKliiiiiil
                                        ; -- End function
	.section	.AMDGPU.csdata,"",@progbits
; Kernel info:
; codeLenInByte = 1512
; NumSgprs: 30
; NumVgprs: 14
; ScratchSize: 0
; MemoryBound: 0
; FloatMode: 240
; IeeeMode: 1
; LDSByteSize: 0 bytes/workgroup (compile time only)
; SGPRBlocks: 3
; VGPRBlocks: 1
; NumSGPRsForWavesPerEU: 30
; NumVGPRsForWavesPerEU: 14
; Occupancy: 16
; WaveLimiterHint : 1
; COMPUTE_PGM_RSRC2:SCRATCH_EN: 0
; COMPUTE_PGM_RSRC2:USER_SGPR: 14
; COMPUTE_PGM_RSRC2:TRAP_HANDLER: 0
; COMPUTE_PGM_RSRC2:TGID_X_EN: 1
; COMPUTE_PGM_RSRC2:TGID_Y_EN: 1
; COMPUTE_PGM_RSRC2:TGID_Z_EN: 0
; COMPUTE_PGM_RSRC2:TIDIG_COMP_CNT: 1
	.section	.text._ZN2at6native12_GLOBAL__N_120adaptivemaxgradinputIdEEvPT_PKS3_PKliiiiiil,"axG",@progbits,_ZN2at6native12_GLOBAL__N_120adaptivemaxgradinputIdEEvPT_PKS3_PKliiiiiil,comdat
	.globl	_ZN2at6native12_GLOBAL__N_120adaptivemaxgradinputIdEEvPT_PKS3_PKliiiiiil ; -- Begin function _ZN2at6native12_GLOBAL__N_120adaptivemaxgradinputIdEEvPT_PKS3_PKliiiiiil
	.p2align	8
	.type	_ZN2at6native12_GLOBAL__N_120adaptivemaxgradinputIdEEvPT_PKS3_PKliiiiiil,@function
_ZN2at6native12_GLOBAL__N_120adaptivemaxgradinputIdEEvPT_PKS3_PKliiiiiil: ; @_ZN2at6native12_GLOBAL__N_120adaptivemaxgradinputIdEEvPT_PKS3_PKliiiiiil
; %bb.0:
	s_load_b256 s[4:11], s[0:1], 0x18
	s_waitcnt lgkmcnt(0)
	s_add_u32 s2, s14, s10
	s_addc_u32 s3, 0, s11
	s_ashr_i32 s11, s7, 31
	s_mov_b32 s10, s7
	s_delay_alu instid0(SALU_CYCLE_1) | instskip(SKIP_1) | instid1(SALU_CYCLE_1)
	s_or_b64 s[12:13], s[2:3], s[10:11]
	s_mov_b32 s12, 0
	s_cmp_lg_u64 s[12:13], 0
	s_cbranch_scc0 .LBB8_10
; %bb.1:
	s_add_u32 s18, s10, s11
	s_mov_b32 s16, s11
	s_mov_b32 s17, s11
	s_addc_u32 s19, s11, s11
	s_delay_alu instid0(SALU_CYCLE_1) | instskip(NEXT) | instid1(SALU_CYCLE_1)
	s_xor_b64 s[18:19], s[18:19], s[16:17]
	v_cvt_f32_u32_e32 v1, s18
	v_cvt_f32_u32_e32 v2, s19
	s_sub_u32 s13, 0, s18
	s_subb_u32 s14, 0, s19
	s_delay_alu instid0(VALU_DEP_1) | instskip(NEXT) | instid1(VALU_DEP_1)
	v_fmamk_f32 v1, v2, 0x4f800000, v1
	v_rcp_f32_e32 v1, v1
	s_waitcnt_depctr 0xfff
	v_mul_f32_e32 v1, 0x5f7ffffc, v1
	s_delay_alu instid0(VALU_DEP_1) | instskip(NEXT) | instid1(VALU_DEP_1)
	v_mul_f32_e32 v2, 0x2f800000, v1
	v_trunc_f32_e32 v2, v2
	s_delay_alu instid0(VALU_DEP_1) | instskip(SKIP_1) | instid1(VALU_DEP_2)
	v_fmamk_f32 v1, v2, 0xcf800000, v1
	v_cvt_u32_f32_e32 v2, v2
	v_cvt_u32_f32_e32 v1, v1
	s_delay_alu instid0(VALU_DEP_2) | instskip(NEXT) | instid1(VALU_DEP_2)
	v_readfirstlane_b32 s7, v2
	v_readfirstlane_b32 s11, v1
	s_delay_alu instid0(VALU_DEP_2) | instskip(NEXT) | instid1(VALU_DEP_1)
	s_mul_i32 s20, s13, s7
	s_mul_hi_u32 s22, s13, s11
	s_mul_i32 s21, s14, s11
	s_add_i32 s20, s22, s20
	s_mul_i32 s23, s13, s11
	s_add_i32 s20, s20, s21
	s_mul_hi_u32 s22, s11, s23
	s_mul_hi_u32 s24, s7, s23
	s_mul_i32 s21, s7, s23
	s_mul_hi_u32 s23, s11, s20
	s_mul_i32 s11, s11, s20
	s_mul_hi_u32 s25, s7, s20
	s_add_u32 s11, s22, s11
	s_addc_u32 s22, 0, s23
	s_add_u32 s11, s11, s21
	s_mul_i32 s20, s7, s20
	s_addc_u32 s11, s22, s24
	s_addc_u32 s21, s25, 0
	s_add_u32 s11, s11, s20
	s_addc_u32 s20, 0, s21
	v_add_co_u32 v1, s11, v1, s11
	s_delay_alu instid0(VALU_DEP_1) | instskip(SKIP_1) | instid1(VALU_DEP_1)
	s_cmp_lg_u32 s11, 0
	s_addc_u32 s7, s7, s20
	v_readfirstlane_b32 s11, v1
	s_mul_i32 s20, s13, s7
	s_delay_alu instid0(VALU_DEP_1)
	s_mul_hi_u32 s21, s13, s11
	s_mul_i32 s14, s14, s11
	s_add_i32 s20, s21, s20
	s_mul_i32 s13, s13, s11
	s_add_i32 s20, s20, s14
	s_mul_hi_u32 s21, s7, s13
	s_mul_i32 s22, s7, s13
	s_mul_hi_u32 s13, s11, s13
	s_mul_hi_u32 s23, s11, s20
	s_mul_i32 s11, s11, s20
	s_mul_hi_u32 s14, s7, s20
	s_add_u32 s11, s13, s11
	s_addc_u32 s13, 0, s23
	s_add_u32 s11, s11, s22
	s_mul_i32 s20, s7, s20
	s_addc_u32 s11, s13, s21
	s_addc_u32 s13, s14, 0
	s_add_u32 s11, s11, s20
	s_addc_u32 s13, 0, s13
	v_add_co_u32 v1, s11, v1, s11
	s_delay_alu instid0(VALU_DEP_1) | instskip(SKIP_2) | instid1(VALU_DEP_1)
	s_cmp_lg_u32 s11, 0
	s_addc_u32 s7, s7, s13
	s_ashr_i32 s20, s3, 31
	v_readfirstlane_b32 s11, v1
	s_add_u32 s22, s2, s20
	s_mov_b32 s21, s20
	s_addc_u32 s23, s3, s20
	s_delay_alu instid0(SALU_CYCLE_1) | instskip(NEXT) | instid1(SALU_CYCLE_1)
	s_xor_b64 s[22:23], s[22:23], s[20:21]
	s_mul_i32 s14, s22, s7
	s_mul_hi_u32 s24, s22, s11
	s_mul_hi_u32 s13, s22, s7
	;; [unrolled: 1-line block ×3, first 2 shown]
	s_mul_i32 s11, s23, s11
	s_add_u32 s14, s24, s14
	s_addc_u32 s13, 0, s13
	s_mul_hi_u32 s25, s23, s7
	s_add_u32 s11, s14, s11
	s_mul_i32 s7, s23, s7
	s_addc_u32 s11, s13, s26
	s_addc_u32 s13, s25, 0
	s_add_u32 s7, s11, s7
	s_addc_u32 s11, 0, s13
	s_mul_i32 s25, s18, s7
	s_mul_hi_u32 s13, s18, s7
	s_mul_i32 s24, s18, s11
	v_sub_co_u32 v1, s22, s22, s25
	s_mul_i32 s14, s19, s7
	s_add_i32 s13, s13, s24
	s_delay_alu instid0(SALU_CYCLE_1) | instskip(NEXT) | instid1(VALU_DEP_1)
	s_add_i32 s13, s13, s14
	v_sub_co_u32 v2, s24, v1, s18
	s_sub_i32 s14, s23, s13
	s_cmp_lg_u32 s22, 0
	s_subb_u32 s14, s14, s19
	s_cmp_lg_u32 s24, 0
	v_readfirstlane_b32 s24, v2
	s_subb_u32 s14, s14, 0
	s_delay_alu instid0(SALU_CYCLE_1) | instskip(SKIP_1) | instid1(VALU_DEP_1)
	s_cmp_ge_u32 s14, s19
	s_cselect_b32 s25, -1, 0
	s_cmp_ge_u32 s24, s18
	s_cselect_b32 s24, -1, 0
	s_cmp_eq_u32 s14, s19
	s_cselect_b32 s14, s24, s25
	s_add_u32 s24, s7, 1
	s_addc_u32 s25, s11, 0
	s_add_u32 s26, s7, 2
	s_addc_u32 s27, s11, 0
	s_cmp_lg_u32 s14, 0
	s_cselect_b32 s14, s26, s24
	s_cselect_b32 s24, s27, s25
	s_cmp_lg_u32 s22, 0
	v_readfirstlane_b32 s22, v1
	s_subb_u32 s13, s23, s13
	s_delay_alu instid0(SALU_CYCLE_1) | instskip(SKIP_1) | instid1(VALU_DEP_1)
	s_cmp_ge_u32 s13, s19
	s_cselect_b32 s23, -1, 0
	s_cmp_ge_u32 s22, s18
	s_cselect_b32 s18, -1, 0
	s_cmp_eq_u32 s13, s19
	s_cselect_b32 s13, s18, s23
	s_delay_alu instid0(SALU_CYCLE_1) | instskip(SKIP_3) | instid1(SALU_CYCLE_1)
	s_cmp_lg_u32 s13, 0
	s_cselect_b32 s19, s24, s11
	s_cselect_b32 s18, s14, s7
	s_xor_b64 s[16:17], s[20:21], s[16:17]
	s_xor_b64 s[18:19], s[18:19], s[16:17]
	s_delay_alu instid0(SALU_CYCLE_1)
	s_sub_u32 s16, s18, s16
	s_load_b32 s7, s[0:1], 0x44
	s_and_not1_b32 vcc_lo, exec_lo, s12
	s_cbranch_vccnz .LBB8_3
.LBB8_2:
	v_cvt_f32_u32_e32 v1, s10
	s_sub_i32 s12, 0, s10
	s_delay_alu instid0(VALU_DEP_1) | instskip(SKIP_2) | instid1(VALU_DEP_1)
	v_rcp_iflag_f32_e32 v1, v1
	s_waitcnt_depctr 0xfff
	v_mul_f32_e32 v1, 0x4f7ffffe, v1
	v_cvt_u32_f32_e32 v1, v1
	s_delay_alu instid0(VALU_DEP_1) | instskip(NEXT) | instid1(VALU_DEP_1)
	v_readfirstlane_b32 s11, v1
	s_mul_i32 s12, s12, s11
	s_delay_alu instid0(SALU_CYCLE_1) | instskip(NEXT) | instid1(SALU_CYCLE_1)
	s_mul_hi_u32 s12, s11, s12
	s_add_i32 s11, s11, s12
	s_delay_alu instid0(SALU_CYCLE_1) | instskip(NEXT) | instid1(SALU_CYCLE_1)
	s_mul_hi_u32 s11, s2, s11
	s_mul_i32 s12, s11, s10
	s_add_i32 s13, s11, 1
	s_sub_i32 s12, s2, s12
	s_delay_alu instid0(SALU_CYCLE_1)
	s_sub_i32 s14, s12, s10
	s_cmp_ge_u32 s12, s10
	s_cselect_b32 s11, s13, s11
	s_cselect_b32 s12, s14, s12
	s_add_i32 s13, s11, 1
	s_cmp_ge_u32 s12, s10
	s_cselect_b32 s16, s13, s11
.LBB8_3:
	v_bfe_u32 v3, v0, 10, 10
	s_waitcnt lgkmcnt(0)
	s_lshr_b32 s17, s7, 16
	s_mov_b32 s10, exec_lo
	s_delay_alu instid0(VALU_DEP_1) | instskip(NEXT) | instid1(VALU_DEP_1)
	v_mad_u64_u32 v[1:2], null, s15, s17, v[3:4]
	v_cmpx_gt_i32_e64 s8, v1
	s_cbranch_execz .LBB8_9
; %bb.4:
	s_clause 0x2
	s_load_b128 s[12:15], s[0:1], 0x0
	s_load_b32 s18, s[0:1], 0x3c
	s_load_b64 s[10:11], s[0:1], 0x10
	s_mul_i32 s0, s5, s4
	s_mul_i32 s19, s3, s9
	;; [unrolled: 1-line block ×3, first 2 shown]
	s_mul_hi_u32 s5, s2, s9
	s_mul_i32 s0, s0, s16
	v_and_b32_e32 v0, 0x3ff, v0
	s_ashr_i32 s1, s0, 31
	s_mul_i32 s20, s2, s9
	s_lshl_b64 s[0:1], s[0:1], 3
	s_mul_hi_u32 s6, s20, s8
	s_mul_i32 s16, s20, s8
	v_dual_mov_b32 v4, 0 :: v_dual_lshlrev_b32 v3, 3, v0
	v_mul_lo_u32 v2, s9, v1
	v_cmp_gt_i32_e32 vcc_lo, s9, v0
	s_waitcnt lgkmcnt(0)
	s_add_u32 s3, s12, s0
	s_addc_u32 s4, s13, s1
	s_ashr_i32 s0, s9, 31
	s_ashr_i32 s1, s8, 31
	s_mul_i32 s0, s2, s0
	s_mul_i32 s20, s20, s1
	s_add_i32 s0, s5, s0
	s_add_i32 s1, s6, s20
	;; [unrolled: 1-line block ×3, first 2 shown]
	s_mul_i32 s2, s18, s17
	s_mul_i32 s0, s0, s8
	s_and_b32 s5, s7, 0xffff
	s_add_i32 s17, s1, s0
	s_mov_b32 s6, 0
	s_lshl_b64 s[0:1], s[16:17], 3
	s_mul_i32 s7, s2, s9
	v_add_co_u32 v6, s0, s0, v3
	s_delay_alu instid0(VALU_DEP_1)
	v_add_co_ci_u32_e64 v7, null, s1, 0, s0
	s_lshl_b32 s12, s5, 3
	s_branch .LBB8_6
.LBB8_5:                                ;   in Loop: Header=BB8_6 Depth=1
	s_set_inst_prefetch_distance 0x2
	s_or_b32 exec_lo, exec_lo, s13
	v_add_nc_u32_e32 v1, s2, v1
	v_add_nc_u32_e32 v2, s7, v2
	s_delay_alu instid0(VALU_DEP_2) | instskip(NEXT) | instid1(VALU_DEP_1)
	v_cmp_le_i32_e64 s0, s8, v1
	s_or_b32 s6, s0, s6
	s_delay_alu instid0(SALU_CYCLE_1)
	s_and_not1_b32 exec_lo, exec_lo, s6
	s_cbranch_execz .LBB8_9
.LBB8_6:                                ; =>This Loop Header: Depth=1
                                        ;     Child Loop BB8_8 Depth 2
	s_and_saveexec_b32 s13, vcc_lo
	s_cbranch_execz .LBB8_5
; %bb.7:                                ;   in Loop: Header=BB8_6 Depth=1
	v_ashrrev_i32_e32 v3, 31, v2
	s_mov_b32 s16, 0
	s_delay_alu instid0(VALU_DEP_1) | instskip(NEXT) | instid1(VALU_DEP_1)
	v_lshlrev_b64 v[8:9], 3, v[2:3]
	v_add_co_u32 v3, s0, v6, v8
	s_delay_alu instid0(VALU_DEP_1)
	v_add_co_ci_u32_e64 v8, s0, v7, v9, s0
	v_mov_b32_e32 v9, v0
	s_set_inst_prefetch_distance 0x1
	.p2align	6
.LBB8_8:                                ;   Parent Loop BB8_6 Depth=1
                                        ; =>  This Inner Loop Header: Depth=2
	s_delay_alu instid0(VALU_DEP_3) | instskip(NEXT) | instid1(VALU_DEP_1)
	v_add_co_u32 v10, s0, s10, v3
	v_add_co_ci_u32_e64 v11, s0, s11, v8, s0
	s_delay_alu instid0(VALU_DEP_3) | instskip(SKIP_2) | instid1(VALU_DEP_1)
	v_add_nc_u32_e32 v9, s5, v9
	global_load_b32 v5, v[10:11], off
	v_add_co_u32 v10, s0, s14, v3
	v_add_co_ci_u32_e64 v11, s0, s15, v8, s0
	v_add_co_u32 v3, s1, v3, s12
	s_delay_alu instid0(VALU_DEP_1) | instskip(SKIP_2) | instid1(VALU_DEP_1)
	v_add_co_ci_u32_e64 v8, s1, 0, v8, s1
	s_waitcnt vmcnt(0)
	v_ashrrev_i64 v[12:13], 29, v[4:5]
	v_add_co_u32 v12, s0, s3, v12
	s_delay_alu instid0(VALU_DEP_1)
	v_add_co_ci_u32_e64 v13, s0, s4, v13, s0
	v_cmp_le_i32_e64 s0, s9, v9
	global_load_b64 v[10:11], v[10:11], off
	global_load_b64 v[14:15], v[12:13], off
	s_or_b32 s16, s0, s16
	s_waitcnt vmcnt(0)
	v_add_f64 v[10:11], v[10:11], v[14:15]
	global_store_b64 v[12:13], v[10:11], off
	s_and_not1_b32 exec_lo, exec_lo, s16
	s_cbranch_execnz .LBB8_8
	s_branch .LBB8_5
.LBB8_9:
	s_nop 0
	s_sendmsg sendmsg(MSG_DEALLOC_VGPRS)
	s_endpgm
.LBB8_10:
                                        ; implicit-def: $sgpr16_sgpr17
	s_load_b32 s7, s[0:1], 0x44
	s_branch .LBB8_2
	.section	.rodata,"a",@progbits
	.p2align	6, 0x0
	.amdhsa_kernel _ZN2at6native12_GLOBAL__N_120adaptivemaxgradinputIdEEvPT_PKS3_PKliiiiiil
		.amdhsa_group_segment_fixed_size 0
		.amdhsa_private_segment_fixed_size 0
		.amdhsa_kernarg_size 312
		.amdhsa_user_sgpr_count 14
		.amdhsa_user_sgpr_dispatch_ptr 0
		.amdhsa_user_sgpr_queue_ptr 0
		.amdhsa_user_sgpr_kernarg_segment_ptr 1
		.amdhsa_user_sgpr_dispatch_id 0
		.amdhsa_user_sgpr_private_segment_size 0
		.amdhsa_wavefront_size32 1
		.amdhsa_uses_dynamic_stack 0
		.amdhsa_enable_private_segment 0
		.amdhsa_system_sgpr_workgroup_id_x 1
		.amdhsa_system_sgpr_workgroup_id_y 1
		.amdhsa_system_sgpr_workgroup_id_z 0
		.amdhsa_system_sgpr_workgroup_info 0
		.amdhsa_system_vgpr_workitem_id 1
		.amdhsa_next_free_vgpr 16
		.amdhsa_next_free_sgpr 28
		.amdhsa_reserve_vcc 1
		.amdhsa_float_round_mode_32 0
		.amdhsa_float_round_mode_16_64 0
		.amdhsa_float_denorm_mode_32 3
		.amdhsa_float_denorm_mode_16_64 3
		.amdhsa_dx10_clamp 1
		.amdhsa_ieee_mode 1
		.amdhsa_fp16_overflow 0
		.amdhsa_workgroup_processor_mode 1
		.amdhsa_memory_ordered 1
		.amdhsa_forward_progress 0
		.amdhsa_shared_vgpr_count 0
		.amdhsa_exception_fp_ieee_invalid_op 0
		.amdhsa_exception_fp_denorm_src 0
		.amdhsa_exception_fp_ieee_div_zero 0
		.amdhsa_exception_fp_ieee_overflow 0
		.amdhsa_exception_fp_ieee_underflow 0
		.amdhsa_exception_fp_ieee_inexact 0
		.amdhsa_exception_int_div_zero 0
	.end_amdhsa_kernel
	.section	.text._ZN2at6native12_GLOBAL__N_120adaptivemaxgradinputIdEEvPT_PKS3_PKliiiiiil,"axG",@progbits,_ZN2at6native12_GLOBAL__N_120adaptivemaxgradinputIdEEvPT_PKS3_PKliiiiiil,comdat
.Lfunc_end8:
	.size	_ZN2at6native12_GLOBAL__N_120adaptivemaxgradinputIdEEvPT_PKS3_PKliiiiiil, .Lfunc_end8-_ZN2at6native12_GLOBAL__N_120adaptivemaxgradinputIdEEvPT_PKS3_PKliiiiiil
                                        ; -- End function
	.section	.AMDGPU.csdata,"",@progbits
; Kernel info:
; codeLenInByte = 1308
; NumSgprs: 30
; NumVgprs: 16
; ScratchSize: 0
; MemoryBound: 0
; FloatMode: 240
; IeeeMode: 1
; LDSByteSize: 0 bytes/workgroup (compile time only)
; SGPRBlocks: 3
; VGPRBlocks: 1
; NumSGPRsForWavesPerEU: 30
; NumVGPRsForWavesPerEU: 16
; Occupancy: 16
; WaveLimiterHint : 1
; COMPUTE_PGM_RSRC2:SCRATCH_EN: 0
; COMPUTE_PGM_RSRC2:USER_SGPR: 14
; COMPUTE_PGM_RSRC2:TRAP_HANDLER: 0
; COMPUTE_PGM_RSRC2:TGID_X_EN: 1
; COMPUTE_PGM_RSRC2:TGID_Y_EN: 1
; COMPUTE_PGM_RSRC2:TGID_Z_EN: 0
; COMPUTE_PGM_RSRC2:TIDIG_COMP_CNT: 1
	.section	.text._ZN2at6native12_GLOBAL__N_120adaptivemaxgradinputIfEEvPT_PKS3_PKliiiiiil,"axG",@progbits,_ZN2at6native12_GLOBAL__N_120adaptivemaxgradinputIfEEvPT_PKS3_PKliiiiiil,comdat
	.globl	_ZN2at6native12_GLOBAL__N_120adaptivemaxgradinputIfEEvPT_PKS3_PKliiiiiil ; -- Begin function _ZN2at6native12_GLOBAL__N_120adaptivemaxgradinputIfEEvPT_PKS3_PKliiiiiil
	.p2align	8
	.type	_ZN2at6native12_GLOBAL__N_120adaptivemaxgradinputIfEEvPT_PKS3_PKliiiiiil,@function
_ZN2at6native12_GLOBAL__N_120adaptivemaxgradinputIfEEvPT_PKS3_PKliiiiiil: ; @_ZN2at6native12_GLOBAL__N_120adaptivemaxgradinputIfEEvPT_PKS3_PKliiiiiil
; %bb.0:
	s_load_b256 s[4:11], s[0:1], 0x18
	s_waitcnt lgkmcnt(0)
	s_add_u32 s2, s14, s10
	s_addc_u32 s3, 0, s11
	s_ashr_i32 s11, s7, 31
	s_mov_b32 s10, s7
	s_delay_alu instid0(SALU_CYCLE_1) | instskip(SKIP_1) | instid1(SALU_CYCLE_1)
	s_or_b64 s[12:13], s[2:3], s[10:11]
	s_mov_b32 s12, 0
	s_cmp_lg_u64 s[12:13], 0
	s_cbranch_scc0 .LBB9_10
; %bb.1:
	s_add_u32 s18, s10, s11
	s_mov_b32 s16, s11
	s_mov_b32 s17, s11
	s_addc_u32 s19, s11, s11
	s_delay_alu instid0(SALU_CYCLE_1) | instskip(NEXT) | instid1(SALU_CYCLE_1)
	s_xor_b64 s[18:19], s[18:19], s[16:17]
	v_cvt_f32_u32_e32 v1, s18
	v_cvt_f32_u32_e32 v2, s19
	s_sub_u32 s13, 0, s18
	s_subb_u32 s14, 0, s19
	s_delay_alu instid0(VALU_DEP_1) | instskip(NEXT) | instid1(VALU_DEP_1)
	v_fmamk_f32 v1, v2, 0x4f800000, v1
	v_rcp_f32_e32 v1, v1
	s_waitcnt_depctr 0xfff
	v_mul_f32_e32 v1, 0x5f7ffffc, v1
	s_delay_alu instid0(VALU_DEP_1) | instskip(NEXT) | instid1(VALU_DEP_1)
	v_mul_f32_e32 v2, 0x2f800000, v1
	v_trunc_f32_e32 v2, v2
	s_delay_alu instid0(VALU_DEP_1) | instskip(SKIP_1) | instid1(VALU_DEP_2)
	v_fmamk_f32 v1, v2, 0xcf800000, v1
	v_cvt_u32_f32_e32 v2, v2
	v_cvt_u32_f32_e32 v1, v1
	s_delay_alu instid0(VALU_DEP_2) | instskip(NEXT) | instid1(VALU_DEP_2)
	v_readfirstlane_b32 s7, v2
	v_readfirstlane_b32 s11, v1
	s_delay_alu instid0(VALU_DEP_2) | instskip(NEXT) | instid1(VALU_DEP_1)
	s_mul_i32 s20, s13, s7
	s_mul_hi_u32 s22, s13, s11
	s_mul_i32 s21, s14, s11
	s_add_i32 s20, s22, s20
	s_mul_i32 s23, s13, s11
	s_add_i32 s20, s20, s21
	s_mul_hi_u32 s22, s11, s23
	s_mul_hi_u32 s24, s7, s23
	s_mul_i32 s21, s7, s23
	s_mul_hi_u32 s23, s11, s20
	s_mul_i32 s11, s11, s20
	s_mul_hi_u32 s25, s7, s20
	s_add_u32 s11, s22, s11
	s_addc_u32 s22, 0, s23
	s_add_u32 s11, s11, s21
	s_mul_i32 s20, s7, s20
	s_addc_u32 s11, s22, s24
	s_addc_u32 s21, s25, 0
	s_add_u32 s11, s11, s20
	s_addc_u32 s20, 0, s21
	v_add_co_u32 v1, s11, v1, s11
	s_delay_alu instid0(VALU_DEP_1) | instskip(SKIP_1) | instid1(VALU_DEP_1)
	s_cmp_lg_u32 s11, 0
	s_addc_u32 s7, s7, s20
	v_readfirstlane_b32 s11, v1
	s_mul_i32 s20, s13, s7
	s_delay_alu instid0(VALU_DEP_1)
	s_mul_hi_u32 s21, s13, s11
	s_mul_i32 s14, s14, s11
	s_add_i32 s20, s21, s20
	s_mul_i32 s13, s13, s11
	s_add_i32 s20, s20, s14
	s_mul_hi_u32 s21, s7, s13
	s_mul_i32 s22, s7, s13
	s_mul_hi_u32 s13, s11, s13
	s_mul_hi_u32 s23, s11, s20
	s_mul_i32 s11, s11, s20
	s_mul_hi_u32 s14, s7, s20
	s_add_u32 s11, s13, s11
	s_addc_u32 s13, 0, s23
	s_add_u32 s11, s11, s22
	s_mul_i32 s20, s7, s20
	s_addc_u32 s11, s13, s21
	s_addc_u32 s13, s14, 0
	s_add_u32 s11, s11, s20
	s_addc_u32 s13, 0, s13
	v_add_co_u32 v1, s11, v1, s11
	s_delay_alu instid0(VALU_DEP_1) | instskip(SKIP_2) | instid1(VALU_DEP_1)
	s_cmp_lg_u32 s11, 0
	s_addc_u32 s7, s7, s13
	s_ashr_i32 s20, s3, 31
	v_readfirstlane_b32 s11, v1
	s_add_u32 s22, s2, s20
	s_mov_b32 s21, s20
	s_addc_u32 s23, s3, s20
	s_delay_alu instid0(SALU_CYCLE_1) | instskip(NEXT) | instid1(SALU_CYCLE_1)
	s_xor_b64 s[22:23], s[22:23], s[20:21]
	s_mul_i32 s14, s22, s7
	s_mul_hi_u32 s24, s22, s11
	s_mul_hi_u32 s13, s22, s7
	;; [unrolled: 1-line block ×3, first 2 shown]
	s_mul_i32 s11, s23, s11
	s_add_u32 s14, s24, s14
	s_addc_u32 s13, 0, s13
	s_mul_hi_u32 s25, s23, s7
	s_add_u32 s11, s14, s11
	s_mul_i32 s7, s23, s7
	s_addc_u32 s11, s13, s26
	s_addc_u32 s13, s25, 0
	s_add_u32 s7, s11, s7
	s_addc_u32 s11, 0, s13
	s_mul_i32 s25, s18, s7
	s_mul_hi_u32 s13, s18, s7
	s_mul_i32 s24, s18, s11
	v_sub_co_u32 v1, s22, s22, s25
	s_mul_i32 s14, s19, s7
	s_add_i32 s13, s13, s24
	s_delay_alu instid0(SALU_CYCLE_1) | instskip(NEXT) | instid1(VALU_DEP_1)
	s_add_i32 s13, s13, s14
	v_sub_co_u32 v2, s24, v1, s18
	s_sub_i32 s14, s23, s13
	s_cmp_lg_u32 s22, 0
	s_subb_u32 s14, s14, s19
	s_cmp_lg_u32 s24, 0
	v_readfirstlane_b32 s24, v2
	s_subb_u32 s14, s14, 0
	s_delay_alu instid0(SALU_CYCLE_1) | instskip(SKIP_1) | instid1(VALU_DEP_1)
	s_cmp_ge_u32 s14, s19
	s_cselect_b32 s25, -1, 0
	s_cmp_ge_u32 s24, s18
	s_cselect_b32 s24, -1, 0
	s_cmp_eq_u32 s14, s19
	s_cselect_b32 s14, s24, s25
	s_add_u32 s24, s7, 1
	s_addc_u32 s25, s11, 0
	s_add_u32 s26, s7, 2
	s_addc_u32 s27, s11, 0
	s_cmp_lg_u32 s14, 0
	s_cselect_b32 s14, s26, s24
	s_cselect_b32 s24, s27, s25
	s_cmp_lg_u32 s22, 0
	v_readfirstlane_b32 s22, v1
	s_subb_u32 s13, s23, s13
	s_delay_alu instid0(SALU_CYCLE_1) | instskip(SKIP_1) | instid1(VALU_DEP_1)
	s_cmp_ge_u32 s13, s19
	s_cselect_b32 s23, -1, 0
	s_cmp_ge_u32 s22, s18
	s_cselect_b32 s18, -1, 0
	s_cmp_eq_u32 s13, s19
	s_cselect_b32 s13, s18, s23
	s_delay_alu instid0(SALU_CYCLE_1) | instskip(SKIP_3) | instid1(SALU_CYCLE_1)
	s_cmp_lg_u32 s13, 0
	s_cselect_b32 s19, s24, s11
	s_cselect_b32 s18, s14, s7
	s_xor_b64 s[16:17], s[20:21], s[16:17]
	s_xor_b64 s[18:19], s[18:19], s[16:17]
	s_delay_alu instid0(SALU_CYCLE_1)
	s_sub_u32 s16, s18, s16
	s_load_b32 s7, s[0:1], 0x44
	s_and_not1_b32 vcc_lo, exec_lo, s12
	s_cbranch_vccnz .LBB9_3
.LBB9_2:
	v_cvt_f32_u32_e32 v1, s10
	s_sub_i32 s12, 0, s10
	s_delay_alu instid0(VALU_DEP_1) | instskip(SKIP_2) | instid1(VALU_DEP_1)
	v_rcp_iflag_f32_e32 v1, v1
	s_waitcnt_depctr 0xfff
	v_mul_f32_e32 v1, 0x4f7ffffe, v1
	v_cvt_u32_f32_e32 v1, v1
	s_delay_alu instid0(VALU_DEP_1) | instskip(NEXT) | instid1(VALU_DEP_1)
	v_readfirstlane_b32 s11, v1
	s_mul_i32 s12, s12, s11
	s_delay_alu instid0(SALU_CYCLE_1) | instskip(NEXT) | instid1(SALU_CYCLE_1)
	s_mul_hi_u32 s12, s11, s12
	s_add_i32 s11, s11, s12
	s_delay_alu instid0(SALU_CYCLE_1) | instskip(NEXT) | instid1(SALU_CYCLE_1)
	s_mul_hi_u32 s11, s2, s11
	s_mul_i32 s12, s11, s10
	s_add_i32 s13, s11, 1
	s_sub_i32 s12, s2, s12
	s_delay_alu instid0(SALU_CYCLE_1)
	s_sub_i32 s14, s12, s10
	s_cmp_ge_u32 s12, s10
	s_cselect_b32 s11, s13, s11
	s_cselect_b32 s12, s14, s12
	s_add_i32 s13, s11, 1
	s_cmp_ge_u32 s12, s10
	s_cselect_b32 s16, s13, s11
.LBB9_3:
	v_bfe_u32 v3, v0, 10, 10
	s_waitcnt lgkmcnt(0)
	s_lshr_b32 s10, s7, 16
	s_mov_b32 s11, exec_lo
	s_delay_alu instid0(VALU_DEP_1) | instskip(NEXT) | instid1(VALU_DEP_1)
	v_mad_u64_u32 v[1:2], null, s15, s10, v[3:4]
	v_cmpx_gt_i32_e64 s8, v1
	s_cbranch_execz .LBB9_9
; %bb.4:
	s_clause 0x2
	s_load_b128 s[12:15], s[0:1], 0x0
	s_load_b32 s11, s[0:1], 0x3c
	s_load_b64 s[0:1], s[0:1], 0x10
	s_mul_i32 s4, s5, s4
	s_mul_i32 s18, s3, s9
	;; [unrolled: 1-line block ×3, first 2 shown]
	s_mul_hi_u32 s17, s2, s9
	s_mul_i32 s4, s3, s16
	s_mul_i32 s19, s2, s9
	s_ashr_i32 s5, s4, 31
	v_and_b32_e32 v0, 0x3ff, v0
	s_lshl_b64 s[4:5], s[4:5], 2
	s_mul_hi_u32 s6, s19, s8
	s_mul_i32 s16, s19, s8
	v_mul_lo_u32 v2, s9, v1
	v_lshlrev_b32_e32 v3, 2, v0
	v_lshlrev_b32_e32 v4, 3, v0
	v_cmp_gt_i32_e32 vcc_lo, s9, v0
	s_waitcnt lgkmcnt(0)
	s_add_u32 s3, s12, s4
	s_addc_u32 s4, s13, s5
	s_ashr_i32 s5, s9, 31
	s_delay_alu instid0(SALU_CYCLE_1)
	s_mul_i32 s2, s2, s5
	s_ashr_i32 s5, s8, 31
	s_add_i32 s2, s17, s2
	s_mul_i32 s19, s19, s5
	s_add_i32 s2, s2, s18
	s_add_i32 s5, s6, s19
	s_mul_i32 s2, s2, s8
	s_delay_alu instid0(SALU_CYCLE_1)
	s_add_i32 s17, s5, s2
	s_mul_i32 s2, s11, s10
	s_lshl_b64 s[10:11], s[16:17], 2
	s_and_b32 s5, s7, 0xffff
	s_add_u32 s6, s14, s10
	s_addc_u32 s7, s15, s11
	v_add_co_u32 v10, s6, s6, v3
	s_lshl_b64 s[10:11], s[16:17], 3
	v_add_co_ci_u32_e64 v11, null, s7, 0, s6
	s_lshl_b32 s6, s5, 2
	s_add_u32 s0, s0, s10
	s_addc_u32 s1, s1, s11
	v_add_co_u32 v12, s0, s0, v4
	v_mov_b32_e32 v4, 0
	v_add_co_ci_u32_e64 v13, null, s1, 0, s0
	s_mov_b32 s7, 0
	s_mul_i32 s10, s2, s9
	s_lshl_b32 s11, s5, 3
	s_branch .LBB9_6
.LBB9_5:                                ;   in Loop: Header=BB9_6 Depth=1
	s_or_b32 exec_lo, exec_lo, s12
	v_add_nc_u32_e32 v1, s2, v1
	v_add_nc_u32_e32 v2, s10, v2
	s_delay_alu instid0(VALU_DEP_2) | instskip(NEXT) | instid1(VALU_DEP_1)
	v_cmp_le_i32_e64 s0, s8, v1
	s_or_b32 s7, s0, s7
	s_delay_alu instid0(SALU_CYCLE_1)
	s_and_not1_b32 exec_lo, exec_lo, s7
	s_cbranch_execz .LBB9_9
.LBB9_6:                                ; =>This Loop Header: Depth=1
                                        ;     Child Loop BB9_8 Depth 2
	s_and_saveexec_b32 s12, vcc_lo
	s_cbranch_execz .LBB9_5
; %bb.7:                                ;   in Loop: Header=BB9_6 Depth=1
	v_ashrrev_i32_e32 v3, 31, v2
	s_mov_b32 s13, 0
	s_delay_alu instid0(VALU_DEP_1) | instskip(SKIP_2) | instid1(VALU_DEP_3)
	v_lshlrev_b64 v[6:7], 2, v[2:3]
	v_lshlrev_b64 v[8:9], 3, v[2:3]
	v_mov_b32_e32 v3, v0
	v_add_co_u32 v6, s0, v10, v6
	s_delay_alu instid0(VALU_DEP_1) | instskip(NEXT) | instid1(VALU_DEP_4)
	v_add_co_ci_u32_e64 v7, s0, v11, v7, s0
	v_add_co_u32 v8, s0, v12, v8
	s_delay_alu instid0(VALU_DEP_1)
	v_add_co_ci_u32_e64 v9, s0, v13, v9, s0
	.p2align	6
.LBB9_8:                                ;   Parent Loop BB9_6 Depth=1
                                        ; =>  This Inner Loop Header: Depth=2
	global_load_b32 v5, v[8:9], off
	v_add_nc_u32_e32 v3, s5, v3
	s_delay_alu instid0(VALU_DEP_1) | instskip(NEXT) | instid1(VALU_DEP_1)
	v_cmp_le_i32_e64 s1, s9, v3
	s_or_b32 s13, s1, s13
	s_waitcnt vmcnt(0)
	v_ashrrev_i64 v[14:15], 30, v[4:5]
	s_delay_alu instid0(VALU_DEP_1) | instskip(NEXT) | instid1(VALU_DEP_1)
	v_add_co_u32 v14, s0, s3, v14
	v_add_co_ci_u32_e64 v15, s0, s4, v15, s0
	global_load_b32 v5, v[6:7], off
	global_load_b32 v16, v[14:15], off
	v_add_co_u32 v6, s0, v6, s6
	s_delay_alu instid0(VALU_DEP_1) | instskip(SKIP_1) | instid1(VALU_DEP_1)
	v_add_co_ci_u32_e64 v7, s0, 0, v7, s0
	v_add_co_u32 v8, s0, v8, s11
	v_add_co_ci_u32_e64 v9, s0, 0, v9, s0
	s_waitcnt vmcnt(0)
	v_add_f32_e32 v5, v5, v16
	global_store_b32 v[14:15], v5, off
	s_and_not1_b32 exec_lo, exec_lo, s13
	s_cbranch_execnz .LBB9_8
	s_branch .LBB9_5
.LBB9_9:
	s_nop 0
	s_sendmsg sendmsg(MSG_DEALLOC_VGPRS)
	s_endpgm
.LBB9_10:
                                        ; implicit-def: $sgpr16_sgpr17
	s_load_b32 s7, s[0:1], 0x44
	s_branch .LBB9_2
	.section	.rodata,"a",@progbits
	.p2align	6, 0x0
	.amdhsa_kernel _ZN2at6native12_GLOBAL__N_120adaptivemaxgradinputIfEEvPT_PKS3_PKliiiiiil
		.amdhsa_group_segment_fixed_size 0
		.amdhsa_private_segment_fixed_size 0
		.amdhsa_kernarg_size 312
		.amdhsa_user_sgpr_count 14
		.amdhsa_user_sgpr_dispatch_ptr 0
		.amdhsa_user_sgpr_queue_ptr 0
		.amdhsa_user_sgpr_kernarg_segment_ptr 1
		.amdhsa_user_sgpr_dispatch_id 0
		.amdhsa_user_sgpr_private_segment_size 0
		.amdhsa_wavefront_size32 1
		.amdhsa_uses_dynamic_stack 0
		.amdhsa_enable_private_segment 0
		.amdhsa_system_sgpr_workgroup_id_x 1
		.amdhsa_system_sgpr_workgroup_id_y 1
		.amdhsa_system_sgpr_workgroup_id_z 0
		.amdhsa_system_sgpr_workgroup_info 0
		.amdhsa_system_vgpr_workitem_id 1
		.amdhsa_next_free_vgpr 17
		.amdhsa_next_free_sgpr 28
		.amdhsa_reserve_vcc 1
		.amdhsa_float_round_mode_32 0
		.amdhsa_float_round_mode_16_64 0
		.amdhsa_float_denorm_mode_32 3
		.amdhsa_float_denorm_mode_16_64 3
		.amdhsa_dx10_clamp 1
		.amdhsa_ieee_mode 1
		.amdhsa_fp16_overflow 0
		.amdhsa_workgroup_processor_mode 1
		.amdhsa_memory_ordered 1
		.amdhsa_forward_progress 0
		.amdhsa_shared_vgpr_count 0
		.amdhsa_exception_fp_ieee_invalid_op 0
		.amdhsa_exception_fp_denorm_src 0
		.amdhsa_exception_fp_ieee_div_zero 0
		.amdhsa_exception_fp_ieee_overflow 0
		.amdhsa_exception_fp_ieee_underflow 0
		.amdhsa_exception_fp_ieee_inexact 0
		.amdhsa_exception_int_div_zero 0
	.end_amdhsa_kernel
	.section	.text._ZN2at6native12_GLOBAL__N_120adaptivemaxgradinputIfEEvPT_PKS3_PKliiiiiil,"axG",@progbits,_ZN2at6native12_GLOBAL__N_120adaptivemaxgradinputIfEEvPT_PKS3_PKliiiiiil,comdat
.Lfunc_end9:
	.size	_ZN2at6native12_GLOBAL__N_120adaptivemaxgradinputIfEEvPT_PKS3_PKliiiiiil, .Lfunc_end9-_ZN2at6native12_GLOBAL__N_120adaptivemaxgradinputIfEEvPT_PKS3_PKliiiiiil
                                        ; -- End function
	.section	.AMDGPU.csdata,"",@progbits
; Kernel info:
; codeLenInByte = 1352
; NumSgprs: 30
; NumVgprs: 17
; ScratchSize: 0
; MemoryBound: 0
; FloatMode: 240
; IeeeMode: 1
; LDSByteSize: 0 bytes/workgroup (compile time only)
; SGPRBlocks: 3
; VGPRBlocks: 2
; NumSGPRsForWavesPerEU: 30
; NumVGPRsForWavesPerEU: 17
; Occupancy: 16
; WaveLimiterHint : 1
; COMPUTE_PGM_RSRC2:SCRATCH_EN: 0
; COMPUTE_PGM_RSRC2:USER_SGPR: 14
; COMPUTE_PGM_RSRC2:TRAP_HANDLER: 0
; COMPUTE_PGM_RSRC2:TGID_X_EN: 1
; COMPUTE_PGM_RSRC2:TGID_Y_EN: 1
; COMPUTE_PGM_RSRC2:TGID_Z_EN: 0
; COMPUTE_PGM_RSRC2:TIDIG_COMP_CNT: 1
	.section	.text._ZN2at6native12_GLOBAL__N_120adaptivemaxgradinputIN3c104HalfEEEvPT_PKS5_PKliiiiiil,"axG",@progbits,_ZN2at6native12_GLOBAL__N_120adaptivemaxgradinputIN3c104HalfEEEvPT_PKS5_PKliiiiiil,comdat
	.globl	_ZN2at6native12_GLOBAL__N_120adaptivemaxgradinputIN3c104HalfEEEvPT_PKS5_PKliiiiiil ; -- Begin function _ZN2at6native12_GLOBAL__N_120adaptivemaxgradinputIN3c104HalfEEEvPT_PKS5_PKliiiiiil
	.p2align	8
	.type	_ZN2at6native12_GLOBAL__N_120adaptivemaxgradinputIN3c104HalfEEEvPT_PKS5_PKliiiiiil,@function
_ZN2at6native12_GLOBAL__N_120adaptivemaxgradinputIN3c104HalfEEEvPT_PKS5_PKliiiiiil: ; @_ZN2at6native12_GLOBAL__N_120adaptivemaxgradinputIN3c104HalfEEEvPT_PKS5_PKliiiiiil
; %bb.0:
	s_load_b256 s[4:11], s[0:1], 0x18
	s_waitcnt lgkmcnt(0)
	s_add_u32 s2, s14, s10
	s_addc_u32 s3, 0, s11
	s_ashr_i32 s11, s7, 31
	s_mov_b32 s10, s7
	s_delay_alu instid0(SALU_CYCLE_1) | instskip(SKIP_1) | instid1(SALU_CYCLE_1)
	s_or_b64 s[12:13], s[2:3], s[10:11]
	s_mov_b32 s12, 0
	s_cmp_lg_u64 s[12:13], 0
	s_cbranch_scc0 .LBB10_10
; %bb.1:
	s_add_u32 s18, s10, s11
	s_mov_b32 s16, s11
	s_mov_b32 s17, s11
	s_addc_u32 s19, s11, s11
	s_delay_alu instid0(SALU_CYCLE_1) | instskip(NEXT) | instid1(SALU_CYCLE_1)
	s_xor_b64 s[18:19], s[18:19], s[16:17]
	v_cvt_f32_u32_e32 v1, s18
	v_cvt_f32_u32_e32 v2, s19
	s_sub_u32 s13, 0, s18
	s_subb_u32 s14, 0, s19
	s_delay_alu instid0(VALU_DEP_1) | instskip(NEXT) | instid1(VALU_DEP_1)
	v_fmamk_f32 v1, v2, 0x4f800000, v1
	v_rcp_f32_e32 v1, v1
	s_waitcnt_depctr 0xfff
	v_mul_f32_e32 v1, 0x5f7ffffc, v1
	s_delay_alu instid0(VALU_DEP_1) | instskip(NEXT) | instid1(VALU_DEP_1)
	v_mul_f32_e32 v2, 0x2f800000, v1
	v_trunc_f32_e32 v2, v2
	s_delay_alu instid0(VALU_DEP_1) | instskip(SKIP_1) | instid1(VALU_DEP_2)
	v_fmamk_f32 v1, v2, 0xcf800000, v1
	v_cvt_u32_f32_e32 v2, v2
	v_cvt_u32_f32_e32 v1, v1
	s_delay_alu instid0(VALU_DEP_2) | instskip(NEXT) | instid1(VALU_DEP_2)
	v_readfirstlane_b32 s7, v2
	v_readfirstlane_b32 s11, v1
	s_delay_alu instid0(VALU_DEP_2) | instskip(NEXT) | instid1(VALU_DEP_1)
	s_mul_i32 s20, s13, s7
	s_mul_hi_u32 s22, s13, s11
	s_mul_i32 s21, s14, s11
	s_add_i32 s20, s22, s20
	s_mul_i32 s23, s13, s11
	s_add_i32 s20, s20, s21
	s_mul_hi_u32 s22, s11, s23
	s_mul_hi_u32 s24, s7, s23
	s_mul_i32 s21, s7, s23
	s_mul_hi_u32 s23, s11, s20
	s_mul_i32 s11, s11, s20
	s_mul_hi_u32 s25, s7, s20
	s_add_u32 s11, s22, s11
	s_addc_u32 s22, 0, s23
	s_add_u32 s11, s11, s21
	s_mul_i32 s20, s7, s20
	s_addc_u32 s11, s22, s24
	s_addc_u32 s21, s25, 0
	s_add_u32 s11, s11, s20
	s_addc_u32 s20, 0, s21
	v_add_co_u32 v1, s11, v1, s11
	s_delay_alu instid0(VALU_DEP_1) | instskip(SKIP_1) | instid1(VALU_DEP_1)
	s_cmp_lg_u32 s11, 0
	s_addc_u32 s7, s7, s20
	v_readfirstlane_b32 s11, v1
	s_mul_i32 s20, s13, s7
	s_delay_alu instid0(VALU_DEP_1)
	s_mul_hi_u32 s21, s13, s11
	s_mul_i32 s14, s14, s11
	s_add_i32 s20, s21, s20
	s_mul_i32 s13, s13, s11
	s_add_i32 s20, s20, s14
	s_mul_hi_u32 s21, s7, s13
	s_mul_i32 s22, s7, s13
	s_mul_hi_u32 s13, s11, s13
	s_mul_hi_u32 s23, s11, s20
	s_mul_i32 s11, s11, s20
	s_mul_hi_u32 s14, s7, s20
	s_add_u32 s11, s13, s11
	s_addc_u32 s13, 0, s23
	s_add_u32 s11, s11, s22
	s_mul_i32 s20, s7, s20
	s_addc_u32 s11, s13, s21
	s_addc_u32 s13, s14, 0
	s_add_u32 s11, s11, s20
	s_addc_u32 s13, 0, s13
	v_add_co_u32 v1, s11, v1, s11
	s_delay_alu instid0(VALU_DEP_1) | instskip(SKIP_2) | instid1(VALU_DEP_1)
	s_cmp_lg_u32 s11, 0
	s_addc_u32 s7, s7, s13
	s_ashr_i32 s20, s3, 31
	v_readfirstlane_b32 s11, v1
	s_add_u32 s22, s2, s20
	s_mov_b32 s21, s20
	s_addc_u32 s23, s3, s20
	s_delay_alu instid0(SALU_CYCLE_1) | instskip(NEXT) | instid1(SALU_CYCLE_1)
	s_xor_b64 s[22:23], s[22:23], s[20:21]
	s_mul_i32 s14, s22, s7
	s_mul_hi_u32 s24, s22, s11
	s_mul_hi_u32 s13, s22, s7
	;; [unrolled: 1-line block ×3, first 2 shown]
	s_mul_i32 s11, s23, s11
	s_add_u32 s14, s24, s14
	s_addc_u32 s13, 0, s13
	s_mul_hi_u32 s25, s23, s7
	s_add_u32 s11, s14, s11
	s_mul_i32 s7, s23, s7
	s_addc_u32 s11, s13, s26
	s_addc_u32 s13, s25, 0
	s_add_u32 s7, s11, s7
	s_addc_u32 s11, 0, s13
	s_mul_i32 s25, s18, s7
	s_mul_hi_u32 s13, s18, s7
	s_mul_i32 s24, s18, s11
	v_sub_co_u32 v1, s22, s22, s25
	s_mul_i32 s14, s19, s7
	s_add_i32 s13, s13, s24
	s_delay_alu instid0(SALU_CYCLE_1) | instskip(NEXT) | instid1(VALU_DEP_1)
	s_add_i32 s13, s13, s14
	v_sub_co_u32 v2, s24, v1, s18
	s_sub_i32 s14, s23, s13
	s_cmp_lg_u32 s22, 0
	s_subb_u32 s14, s14, s19
	s_cmp_lg_u32 s24, 0
	v_readfirstlane_b32 s24, v2
	s_subb_u32 s14, s14, 0
	s_delay_alu instid0(SALU_CYCLE_1) | instskip(SKIP_1) | instid1(VALU_DEP_1)
	s_cmp_ge_u32 s14, s19
	s_cselect_b32 s25, -1, 0
	s_cmp_ge_u32 s24, s18
	s_cselect_b32 s24, -1, 0
	s_cmp_eq_u32 s14, s19
	s_cselect_b32 s14, s24, s25
	s_add_u32 s24, s7, 1
	s_addc_u32 s25, s11, 0
	s_add_u32 s26, s7, 2
	s_addc_u32 s27, s11, 0
	s_cmp_lg_u32 s14, 0
	s_cselect_b32 s14, s26, s24
	s_cselect_b32 s24, s27, s25
	s_cmp_lg_u32 s22, 0
	v_readfirstlane_b32 s22, v1
	s_subb_u32 s13, s23, s13
	s_delay_alu instid0(SALU_CYCLE_1) | instskip(SKIP_1) | instid1(VALU_DEP_1)
	s_cmp_ge_u32 s13, s19
	s_cselect_b32 s23, -1, 0
	s_cmp_ge_u32 s22, s18
	s_cselect_b32 s18, -1, 0
	s_cmp_eq_u32 s13, s19
	s_cselect_b32 s13, s18, s23
	s_delay_alu instid0(SALU_CYCLE_1) | instskip(SKIP_3) | instid1(SALU_CYCLE_1)
	s_cmp_lg_u32 s13, 0
	s_cselect_b32 s19, s24, s11
	s_cselect_b32 s18, s14, s7
	s_xor_b64 s[16:17], s[20:21], s[16:17]
	s_xor_b64 s[18:19], s[18:19], s[16:17]
	s_delay_alu instid0(SALU_CYCLE_1)
	s_sub_u32 s16, s18, s16
	s_load_b32 s7, s[0:1], 0x44
	s_and_not1_b32 vcc_lo, exec_lo, s12
	s_cbranch_vccnz .LBB10_3
.LBB10_2:
	v_cvt_f32_u32_e32 v1, s10
	s_sub_i32 s12, 0, s10
	s_delay_alu instid0(VALU_DEP_1) | instskip(SKIP_2) | instid1(VALU_DEP_1)
	v_rcp_iflag_f32_e32 v1, v1
	s_waitcnt_depctr 0xfff
	v_mul_f32_e32 v1, 0x4f7ffffe, v1
	v_cvt_u32_f32_e32 v1, v1
	s_delay_alu instid0(VALU_DEP_1) | instskip(NEXT) | instid1(VALU_DEP_1)
	v_readfirstlane_b32 s11, v1
	s_mul_i32 s12, s12, s11
	s_delay_alu instid0(SALU_CYCLE_1) | instskip(NEXT) | instid1(SALU_CYCLE_1)
	s_mul_hi_u32 s12, s11, s12
	s_add_i32 s11, s11, s12
	s_delay_alu instid0(SALU_CYCLE_1) | instskip(NEXT) | instid1(SALU_CYCLE_1)
	s_mul_hi_u32 s11, s2, s11
	s_mul_i32 s12, s11, s10
	s_add_i32 s13, s11, 1
	s_sub_i32 s12, s2, s12
	s_delay_alu instid0(SALU_CYCLE_1)
	s_sub_i32 s14, s12, s10
	s_cmp_ge_u32 s12, s10
	s_cselect_b32 s11, s13, s11
	s_cselect_b32 s12, s14, s12
	s_add_i32 s13, s11, 1
	s_cmp_ge_u32 s12, s10
	s_cselect_b32 s16, s13, s11
.LBB10_3:
	v_bfe_u32 v3, v0, 10, 10
	s_waitcnt lgkmcnt(0)
	s_lshr_b32 s10, s7, 16
	s_mov_b32 s11, exec_lo
	s_delay_alu instid0(VALU_DEP_1) | instskip(NEXT) | instid1(VALU_DEP_1)
	v_mad_u64_u32 v[1:2], null, s15, s10, v[3:4]
	v_cmpx_gt_i32_e64 s8, v1
	s_cbranch_execz .LBB10_9
; %bb.4:
	s_clause 0x2
	s_load_b128 s[12:15], s[0:1], 0x0
	s_load_b32 s11, s[0:1], 0x3c
	s_load_b64 s[0:1], s[0:1], 0x10
	s_mul_i32 s4, s5, s4
	s_mul_i32 s18, s3, s9
	;; [unrolled: 1-line block ×3, first 2 shown]
	s_mul_hi_u32 s17, s2, s9
	s_mul_i32 s4, s3, s16
	s_mul_i32 s19, s2, s9
	s_ashr_i32 s5, s4, 31
	v_and_b32_e32 v0, 0x3ff, v0
	s_lshl_b64 s[4:5], s[4:5], 1
	s_mul_hi_u32 s6, s19, s8
	s_mul_i32 s16, s19, s8
	v_mul_lo_u32 v2, s9, v1
	v_lshlrev_b32_e32 v3, 1, v0
	v_lshlrev_b32_e32 v4, 3, v0
	v_cmp_gt_i32_e32 vcc_lo, s9, v0
	s_waitcnt lgkmcnt(0)
	s_add_u32 s3, s12, s4
	s_addc_u32 s4, s13, s5
	s_ashr_i32 s5, s9, 31
	s_delay_alu instid0(SALU_CYCLE_1)
	s_mul_i32 s2, s2, s5
	s_ashr_i32 s5, s8, 31
	s_add_i32 s2, s17, s2
	s_mul_i32 s19, s19, s5
	s_add_i32 s2, s2, s18
	s_add_i32 s5, s6, s19
	s_mul_i32 s2, s2, s8
	s_delay_alu instid0(SALU_CYCLE_1)
	s_add_i32 s17, s5, s2
	s_mul_i32 s2, s11, s10
	s_lshl_b64 s[10:11], s[16:17], 1
	s_and_b32 s5, s7, 0xffff
	s_add_u32 s6, s14, s10
	s_addc_u32 s7, s15, s11
	v_add_co_u32 v10, s6, s6, v3
	s_lshl_b64 s[10:11], s[16:17], 3
	v_add_co_ci_u32_e64 v11, null, s7, 0, s6
	s_lshl_b32 s6, s5, 1
	s_add_u32 s0, s0, s10
	s_addc_u32 s1, s1, s11
	v_add_co_u32 v12, s0, s0, v4
	v_mov_b32_e32 v4, 0
	v_add_co_ci_u32_e64 v13, null, s1, 0, s0
	s_mov_b32 s7, 0
	s_mul_i32 s10, s2, s9
	s_lshl_b32 s11, s5, 3
	s_branch .LBB10_6
.LBB10_5:                               ;   in Loop: Header=BB10_6 Depth=1
	s_or_b32 exec_lo, exec_lo, s12
	v_add_nc_u32_e32 v1, s2, v1
	v_add_nc_u32_e32 v2, s10, v2
	s_delay_alu instid0(VALU_DEP_2) | instskip(NEXT) | instid1(VALU_DEP_1)
	v_cmp_le_i32_e64 s0, s8, v1
	s_or_b32 s7, s0, s7
	s_delay_alu instid0(SALU_CYCLE_1)
	s_and_not1_b32 exec_lo, exec_lo, s7
	s_cbranch_execz .LBB10_9
.LBB10_6:                               ; =>This Loop Header: Depth=1
                                        ;     Child Loop BB10_8 Depth 2
	s_and_saveexec_b32 s12, vcc_lo
	s_cbranch_execz .LBB10_5
; %bb.7:                                ;   in Loop: Header=BB10_6 Depth=1
	v_ashrrev_i32_e32 v3, 31, v2
	s_mov_b32 s13, 0
	s_delay_alu instid0(VALU_DEP_1) | instskip(SKIP_2) | instid1(VALU_DEP_3)
	v_lshlrev_b64 v[6:7], 1, v[2:3]
	v_lshlrev_b64 v[8:9], 3, v[2:3]
	v_mov_b32_e32 v3, v0
	v_add_co_u32 v6, s0, v10, v6
	s_delay_alu instid0(VALU_DEP_1) | instskip(NEXT) | instid1(VALU_DEP_4)
	v_add_co_ci_u32_e64 v7, s0, v11, v7, s0
	v_add_co_u32 v8, s0, v12, v8
	s_delay_alu instid0(VALU_DEP_1)
	v_add_co_ci_u32_e64 v9, s0, v13, v9, s0
	.p2align	6
.LBB10_8:                               ;   Parent Loop BB10_6 Depth=1
                                        ; =>  This Inner Loop Header: Depth=2
	global_load_b32 v5, v[8:9], off
	v_add_nc_u32_e32 v3, s5, v3
	s_delay_alu instid0(VALU_DEP_1) | instskip(NEXT) | instid1(VALU_DEP_1)
	v_cmp_le_i32_e64 s1, s9, v3
	s_or_b32 s13, s1, s13
	s_waitcnt vmcnt(0)
	v_ashrrev_i64 v[14:15], 31, v[4:5]
	s_delay_alu instid0(VALU_DEP_1) | instskip(NEXT) | instid1(VALU_DEP_1)
	v_add_co_u32 v14, s0, s3, v14
	v_add_co_ci_u32_e64 v15, s0, s4, v15, s0
	global_load_u16 v5, v[6:7], off
	global_load_u16 v16, v[14:15], off
	v_add_co_u32 v6, s0, v6, s6
	s_delay_alu instid0(VALU_DEP_1) | instskip(SKIP_1) | instid1(VALU_DEP_1)
	v_add_co_ci_u32_e64 v7, s0, 0, v7, s0
	v_add_co_u32 v8, s0, v8, s11
	v_add_co_ci_u32_e64 v9, s0, 0, v9, s0
	s_waitcnt vmcnt(0)
	v_add_f16_e32 v5, v5, v16
	global_store_b16 v[14:15], v5, off
	s_and_not1_b32 exec_lo, exec_lo, s13
	s_cbranch_execnz .LBB10_8
	s_branch .LBB10_5
.LBB10_9:
	s_nop 0
	s_sendmsg sendmsg(MSG_DEALLOC_VGPRS)
	s_endpgm
.LBB10_10:
                                        ; implicit-def: $sgpr16_sgpr17
	s_load_b32 s7, s[0:1], 0x44
	s_branch .LBB10_2
	.section	.rodata,"a",@progbits
	.p2align	6, 0x0
	.amdhsa_kernel _ZN2at6native12_GLOBAL__N_120adaptivemaxgradinputIN3c104HalfEEEvPT_PKS5_PKliiiiiil
		.amdhsa_group_segment_fixed_size 0
		.amdhsa_private_segment_fixed_size 0
		.amdhsa_kernarg_size 312
		.amdhsa_user_sgpr_count 14
		.amdhsa_user_sgpr_dispatch_ptr 0
		.amdhsa_user_sgpr_queue_ptr 0
		.amdhsa_user_sgpr_kernarg_segment_ptr 1
		.amdhsa_user_sgpr_dispatch_id 0
		.amdhsa_user_sgpr_private_segment_size 0
		.amdhsa_wavefront_size32 1
		.amdhsa_uses_dynamic_stack 0
		.amdhsa_enable_private_segment 0
		.amdhsa_system_sgpr_workgroup_id_x 1
		.amdhsa_system_sgpr_workgroup_id_y 1
		.amdhsa_system_sgpr_workgroup_id_z 0
		.amdhsa_system_sgpr_workgroup_info 0
		.amdhsa_system_vgpr_workitem_id 1
		.amdhsa_next_free_vgpr 17
		.amdhsa_next_free_sgpr 28
		.amdhsa_reserve_vcc 1
		.amdhsa_float_round_mode_32 0
		.amdhsa_float_round_mode_16_64 0
		.amdhsa_float_denorm_mode_32 3
		.amdhsa_float_denorm_mode_16_64 3
		.amdhsa_dx10_clamp 1
		.amdhsa_ieee_mode 1
		.amdhsa_fp16_overflow 0
		.amdhsa_workgroup_processor_mode 1
		.amdhsa_memory_ordered 1
		.amdhsa_forward_progress 0
		.amdhsa_shared_vgpr_count 0
		.amdhsa_exception_fp_ieee_invalid_op 0
		.amdhsa_exception_fp_denorm_src 0
		.amdhsa_exception_fp_ieee_div_zero 0
		.amdhsa_exception_fp_ieee_overflow 0
		.amdhsa_exception_fp_ieee_underflow 0
		.amdhsa_exception_fp_ieee_inexact 0
		.amdhsa_exception_int_div_zero 0
	.end_amdhsa_kernel
	.section	.text._ZN2at6native12_GLOBAL__N_120adaptivemaxgradinputIN3c104HalfEEEvPT_PKS5_PKliiiiiil,"axG",@progbits,_ZN2at6native12_GLOBAL__N_120adaptivemaxgradinputIN3c104HalfEEEvPT_PKS5_PKliiiiiil,comdat
.Lfunc_end10:
	.size	_ZN2at6native12_GLOBAL__N_120adaptivemaxgradinputIN3c104HalfEEEvPT_PKS5_PKliiiiiil, .Lfunc_end10-_ZN2at6native12_GLOBAL__N_120adaptivemaxgradinputIN3c104HalfEEEvPT_PKS5_PKliiiiiil
                                        ; -- End function
	.section	.AMDGPU.csdata,"",@progbits
; Kernel info:
; codeLenInByte = 1352
; NumSgprs: 30
; NumVgprs: 17
; ScratchSize: 0
; MemoryBound: 0
; FloatMode: 240
; IeeeMode: 1
; LDSByteSize: 0 bytes/workgroup (compile time only)
; SGPRBlocks: 3
; VGPRBlocks: 2
; NumSGPRsForWavesPerEU: 30
; NumVGPRsForWavesPerEU: 17
; Occupancy: 16
; WaveLimiterHint : 1
; COMPUTE_PGM_RSRC2:SCRATCH_EN: 0
; COMPUTE_PGM_RSRC2:USER_SGPR: 14
; COMPUTE_PGM_RSRC2:TRAP_HANDLER: 0
; COMPUTE_PGM_RSRC2:TGID_X_EN: 1
; COMPUTE_PGM_RSRC2:TGID_Y_EN: 1
; COMPUTE_PGM_RSRC2:TGID_Z_EN: 0
; COMPUTE_PGM_RSRC2:TIDIG_COMP_CNT: 1
	.section	.text._ZN2at6native12_GLOBAL__N_120adaptivemaxgradinputIN3c108BFloat16EEEvPT_PKS5_PKliiiiiil,"axG",@progbits,_ZN2at6native12_GLOBAL__N_120adaptivemaxgradinputIN3c108BFloat16EEEvPT_PKS5_PKliiiiiil,comdat
	.globl	_ZN2at6native12_GLOBAL__N_120adaptivemaxgradinputIN3c108BFloat16EEEvPT_PKS5_PKliiiiiil ; -- Begin function _ZN2at6native12_GLOBAL__N_120adaptivemaxgradinputIN3c108BFloat16EEEvPT_PKS5_PKliiiiiil
	.p2align	8
	.type	_ZN2at6native12_GLOBAL__N_120adaptivemaxgradinputIN3c108BFloat16EEEvPT_PKS5_PKliiiiiil,@function
_ZN2at6native12_GLOBAL__N_120adaptivemaxgradinputIN3c108BFloat16EEEvPT_PKS5_PKliiiiiil: ; @_ZN2at6native12_GLOBAL__N_120adaptivemaxgradinputIN3c108BFloat16EEEvPT_PKS5_PKliiiiiil
; %bb.0:
	s_load_b256 s[4:11], s[0:1], 0x18
	s_waitcnt lgkmcnt(0)
	s_add_u32 s2, s14, s10
	s_addc_u32 s3, 0, s11
	s_ashr_i32 s11, s7, 31
	s_mov_b32 s10, s7
	s_delay_alu instid0(SALU_CYCLE_1) | instskip(SKIP_1) | instid1(SALU_CYCLE_1)
	s_or_b64 s[12:13], s[2:3], s[10:11]
	s_mov_b32 s12, 0
	s_cmp_lg_u64 s[12:13], 0
	s_cbranch_scc0 .LBB11_10
; %bb.1:
	s_add_u32 s18, s10, s11
	s_mov_b32 s16, s11
	s_mov_b32 s17, s11
	s_addc_u32 s19, s11, s11
	s_delay_alu instid0(SALU_CYCLE_1) | instskip(NEXT) | instid1(SALU_CYCLE_1)
	s_xor_b64 s[18:19], s[18:19], s[16:17]
	v_cvt_f32_u32_e32 v1, s18
	v_cvt_f32_u32_e32 v2, s19
	s_sub_u32 s13, 0, s18
	s_subb_u32 s14, 0, s19
	s_delay_alu instid0(VALU_DEP_1) | instskip(NEXT) | instid1(VALU_DEP_1)
	v_fmamk_f32 v1, v2, 0x4f800000, v1
	v_rcp_f32_e32 v1, v1
	s_waitcnt_depctr 0xfff
	v_mul_f32_e32 v1, 0x5f7ffffc, v1
	s_delay_alu instid0(VALU_DEP_1) | instskip(NEXT) | instid1(VALU_DEP_1)
	v_mul_f32_e32 v2, 0x2f800000, v1
	v_trunc_f32_e32 v2, v2
	s_delay_alu instid0(VALU_DEP_1) | instskip(SKIP_1) | instid1(VALU_DEP_2)
	v_fmamk_f32 v1, v2, 0xcf800000, v1
	v_cvt_u32_f32_e32 v2, v2
	v_cvt_u32_f32_e32 v1, v1
	s_delay_alu instid0(VALU_DEP_2) | instskip(NEXT) | instid1(VALU_DEP_2)
	v_readfirstlane_b32 s7, v2
	v_readfirstlane_b32 s11, v1
	s_delay_alu instid0(VALU_DEP_2) | instskip(NEXT) | instid1(VALU_DEP_1)
	s_mul_i32 s20, s13, s7
	s_mul_hi_u32 s22, s13, s11
	s_mul_i32 s21, s14, s11
	s_add_i32 s20, s22, s20
	s_mul_i32 s23, s13, s11
	s_add_i32 s20, s20, s21
	s_mul_hi_u32 s22, s11, s23
	s_mul_hi_u32 s24, s7, s23
	s_mul_i32 s21, s7, s23
	s_mul_hi_u32 s23, s11, s20
	s_mul_i32 s11, s11, s20
	s_mul_hi_u32 s25, s7, s20
	s_add_u32 s11, s22, s11
	s_addc_u32 s22, 0, s23
	s_add_u32 s11, s11, s21
	s_mul_i32 s20, s7, s20
	s_addc_u32 s11, s22, s24
	s_addc_u32 s21, s25, 0
	s_add_u32 s11, s11, s20
	s_addc_u32 s20, 0, s21
	v_add_co_u32 v1, s11, v1, s11
	s_delay_alu instid0(VALU_DEP_1) | instskip(SKIP_1) | instid1(VALU_DEP_1)
	s_cmp_lg_u32 s11, 0
	s_addc_u32 s7, s7, s20
	v_readfirstlane_b32 s11, v1
	s_mul_i32 s20, s13, s7
	s_delay_alu instid0(VALU_DEP_1)
	s_mul_hi_u32 s21, s13, s11
	s_mul_i32 s14, s14, s11
	s_add_i32 s20, s21, s20
	s_mul_i32 s13, s13, s11
	s_add_i32 s20, s20, s14
	s_mul_hi_u32 s21, s7, s13
	s_mul_i32 s22, s7, s13
	s_mul_hi_u32 s13, s11, s13
	s_mul_hi_u32 s23, s11, s20
	s_mul_i32 s11, s11, s20
	s_mul_hi_u32 s14, s7, s20
	s_add_u32 s11, s13, s11
	s_addc_u32 s13, 0, s23
	s_add_u32 s11, s11, s22
	s_mul_i32 s20, s7, s20
	s_addc_u32 s11, s13, s21
	s_addc_u32 s13, s14, 0
	s_add_u32 s11, s11, s20
	s_addc_u32 s13, 0, s13
	v_add_co_u32 v1, s11, v1, s11
	s_delay_alu instid0(VALU_DEP_1) | instskip(SKIP_2) | instid1(VALU_DEP_1)
	s_cmp_lg_u32 s11, 0
	s_addc_u32 s7, s7, s13
	s_ashr_i32 s20, s3, 31
	v_readfirstlane_b32 s11, v1
	s_add_u32 s22, s2, s20
	s_mov_b32 s21, s20
	s_addc_u32 s23, s3, s20
	s_delay_alu instid0(SALU_CYCLE_1) | instskip(NEXT) | instid1(SALU_CYCLE_1)
	s_xor_b64 s[22:23], s[22:23], s[20:21]
	s_mul_i32 s14, s22, s7
	s_mul_hi_u32 s24, s22, s11
	s_mul_hi_u32 s13, s22, s7
	;; [unrolled: 1-line block ×3, first 2 shown]
	s_mul_i32 s11, s23, s11
	s_add_u32 s14, s24, s14
	s_addc_u32 s13, 0, s13
	s_mul_hi_u32 s25, s23, s7
	s_add_u32 s11, s14, s11
	s_mul_i32 s7, s23, s7
	s_addc_u32 s11, s13, s26
	s_addc_u32 s13, s25, 0
	s_add_u32 s7, s11, s7
	s_addc_u32 s11, 0, s13
	s_mul_i32 s25, s18, s7
	s_mul_hi_u32 s13, s18, s7
	s_mul_i32 s24, s18, s11
	v_sub_co_u32 v1, s22, s22, s25
	s_mul_i32 s14, s19, s7
	s_add_i32 s13, s13, s24
	s_delay_alu instid0(SALU_CYCLE_1) | instskip(NEXT) | instid1(VALU_DEP_1)
	s_add_i32 s13, s13, s14
	v_sub_co_u32 v2, s24, v1, s18
	s_sub_i32 s14, s23, s13
	s_cmp_lg_u32 s22, 0
	s_subb_u32 s14, s14, s19
	s_cmp_lg_u32 s24, 0
	v_readfirstlane_b32 s24, v2
	s_subb_u32 s14, s14, 0
	s_delay_alu instid0(SALU_CYCLE_1) | instskip(SKIP_1) | instid1(VALU_DEP_1)
	s_cmp_ge_u32 s14, s19
	s_cselect_b32 s25, -1, 0
	s_cmp_ge_u32 s24, s18
	s_cselect_b32 s24, -1, 0
	s_cmp_eq_u32 s14, s19
	s_cselect_b32 s14, s24, s25
	s_add_u32 s24, s7, 1
	s_addc_u32 s25, s11, 0
	s_add_u32 s26, s7, 2
	s_addc_u32 s27, s11, 0
	s_cmp_lg_u32 s14, 0
	s_cselect_b32 s14, s26, s24
	s_cselect_b32 s24, s27, s25
	s_cmp_lg_u32 s22, 0
	v_readfirstlane_b32 s22, v1
	s_subb_u32 s13, s23, s13
	s_delay_alu instid0(SALU_CYCLE_1) | instskip(SKIP_1) | instid1(VALU_DEP_1)
	s_cmp_ge_u32 s13, s19
	s_cselect_b32 s23, -1, 0
	s_cmp_ge_u32 s22, s18
	s_cselect_b32 s18, -1, 0
	s_cmp_eq_u32 s13, s19
	s_cselect_b32 s13, s18, s23
	s_delay_alu instid0(SALU_CYCLE_1) | instskip(SKIP_3) | instid1(SALU_CYCLE_1)
	s_cmp_lg_u32 s13, 0
	s_cselect_b32 s19, s24, s11
	s_cselect_b32 s18, s14, s7
	s_xor_b64 s[16:17], s[20:21], s[16:17]
	s_xor_b64 s[18:19], s[18:19], s[16:17]
	s_delay_alu instid0(SALU_CYCLE_1)
	s_sub_u32 s16, s18, s16
	s_load_b32 s7, s[0:1], 0x44
	s_and_not1_b32 vcc_lo, exec_lo, s12
	s_cbranch_vccnz .LBB11_3
.LBB11_2:
	v_cvt_f32_u32_e32 v1, s10
	s_sub_i32 s12, 0, s10
	s_delay_alu instid0(VALU_DEP_1) | instskip(SKIP_2) | instid1(VALU_DEP_1)
	v_rcp_iflag_f32_e32 v1, v1
	s_waitcnt_depctr 0xfff
	v_mul_f32_e32 v1, 0x4f7ffffe, v1
	v_cvt_u32_f32_e32 v1, v1
	s_delay_alu instid0(VALU_DEP_1) | instskip(NEXT) | instid1(VALU_DEP_1)
	v_readfirstlane_b32 s11, v1
	s_mul_i32 s12, s12, s11
	s_delay_alu instid0(SALU_CYCLE_1) | instskip(NEXT) | instid1(SALU_CYCLE_1)
	s_mul_hi_u32 s12, s11, s12
	s_add_i32 s11, s11, s12
	s_delay_alu instid0(SALU_CYCLE_1) | instskip(NEXT) | instid1(SALU_CYCLE_1)
	s_mul_hi_u32 s11, s2, s11
	s_mul_i32 s12, s11, s10
	s_add_i32 s13, s11, 1
	s_sub_i32 s12, s2, s12
	s_delay_alu instid0(SALU_CYCLE_1)
	s_sub_i32 s14, s12, s10
	s_cmp_ge_u32 s12, s10
	s_cselect_b32 s11, s13, s11
	s_cselect_b32 s12, s14, s12
	s_add_i32 s13, s11, 1
	s_cmp_ge_u32 s12, s10
	s_cselect_b32 s16, s13, s11
.LBB11_3:
	v_bfe_u32 v3, v0, 10, 10
	s_waitcnt lgkmcnt(0)
	s_lshr_b32 s10, s7, 16
	s_mov_b32 s11, exec_lo
	s_delay_alu instid0(VALU_DEP_1) | instskip(NEXT) | instid1(VALU_DEP_1)
	v_mad_u64_u32 v[1:2], null, s15, s10, v[3:4]
	v_cmpx_gt_i32_e64 s8, v1
	s_cbranch_execz .LBB11_9
; %bb.4:
	s_clause 0x2
	s_load_b128 s[12:15], s[0:1], 0x0
	s_load_b32 s11, s[0:1], 0x3c
	s_load_b64 s[0:1], s[0:1], 0x10
	s_mul_i32 s4, s5, s4
	s_mul_i32 s18, s3, s9
	;; [unrolled: 1-line block ×3, first 2 shown]
	s_mul_hi_u32 s17, s2, s9
	s_mul_i32 s4, s3, s16
	s_mul_i32 s19, s2, s9
	s_ashr_i32 s5, s4, 31
	v_and_b32_e32 v0, 0x3ff, v0
	s_lshl_b64 s[4:5], s[4:5], 1
	s_mul_hi_u32 s6, s19, s8
	s_mul_i32 s16, s19, s8
	v_mul_lo_u32 v2, s9, v1
	v_lshlrev_b32_e32 v3, 1, v0
	v_lshlrev_b32_e32 v4, 3, v0
	v_cmp_gt_i32_e32 vcc_lo, s9, v0
	s_waitcnt lgkmcnt(0)
	s_add_u32 s3, s12, s4
	s_addc_u32 s4, s13, s5
	s_ashr_i32 s5, s9, 31
	s_delay_alu instid0(SALU_CYCLE_1)
	s_mul_i32 s2, s2, s5
	s_ashr_i32 s5, s8, 31
	s_add_i32 s2, s17, s2
	s_mul_i32 s19, s19, s5
	s_add_i32 s2, s2, s18
	s_add_i32 s5, s6, s19
	s_mul_i32 s2, s2, s8
	s_and_b32 s6, s7, 0xffff
	s_add_i32 s17, s5, s2
	s_mul_i32 s5, s11, s10
	s_lshl_b64 s[10:11], s[16:17], 1
	s_delay_alu instid0(SALU_CYCLE_1)
	s_add_u32 s2, s14, s10
	s_addc_u32 s7, s15, s11
	v_add_co_u32 v10, s2, s2, v3
	s_lshl_b64 s[10:11], s[16:17], 3
	v_add_co_ci_u32_e64 v11, null, s7, 0, s2
	s_lshl_b32 s7, s6, 1
	s_add_u32 s0, s0, s10
	s_addc_u32 s1, s1, s11
	v_add_co_u32 v12, s0, s0, v4
	v_mov_b32_e32 v4, 0
	v_add_co_ci_u32_e64 v13, null, s1, 0, s0
	s_mov_b32 s10, 0
	s_mul_i32 s11, s5, s9
	s_lshl_b32 s12, s6, 3
	s_branch .LBB11_6
.LBB11_5:                               ;   in Loop: Header=BB11_6 Depth=1
	s_set_inst_prefetch_distance 0x2
	s_or_b32 exec_lo, exec_lo, s13
	v_add_nc_u32_e32 v1, s5, v1
	v_add_nc_u32_e32 v2, s11, v2
	s_delay_alu instid0(VALU_DEP_2) | instskip(NEXT) | instid1(VALU_DEP_1)
	v_cmp_le_i32_e64 s0, s8, v1
	s_or_b32 s10, s0, s10
	s_delay_alu instid0(SALU_CYCLE_1)
	s_and_not1_b32 exec_lo, exec_lo, s10
	s_cbranch_execz .LBB11_9
.LBB11_6:                               ; =>This Loop Header: Depth=1
                                        ;     Child Loop BB11_8 Depth 2
	s_and_saveexec_b32 s13, vcc_lo
	s_cbranch_execz .LBB11_5
; %bb.7:                                ;   in Loop: Header=BB11_6 Depth=1
	v_ashrrev_i32_e32 v3, 31, v2
	s_mov_b32 s14, 0
	s_delay_alu instid0(VALU_DEP_1) | instskip(SKIP_2) | instid1(VALU_DEP_3)
	v_lshlrev_b64 v[6:7], 1, v[2:3]
	v_lshlrev_b64 v[8:9], 3, v[2:3]
	v_mov_b32_e32 v3, v0
	v_add_co_u32 v6, s0, v10, v6
	s_delay_alu instid0(VALU_DEP_1) | instskip(NEXT) | instid1(VALU_DEP_4)
	v_add_co_ci_u32_e64 v7, s0, v11, v7, s0
	v_add_co_u32 v8, s0, v12, v8
	s_delay_alu instid0(VALU_DEP_1)
	v_add_co_ci_u32_e64 v9, s0, v13, v9, s0
	s_set_inst_prefetch_distance 0x1
	.p2align	6
.LBB11_8:                               ;   Parent Loop BB11_6 Depth=1
                                        ; =>  This Inner Loop Header: Depth=2
	global_load_b32 v5, v[8:9], off
	v_add_nc_u32_e32 v3, s6, v3
	s_delay_alu instid0(VALU_DEP_1) | instskip(NEXT) | instid1(VALU_DEP_1)
	v_cmp_le_i32_e64 s1, s9, v3
	s_or_b32 s14, s1, s14
	s_waitcnt vmcnt(0)
	v_ashrrev_i64 v[14:15], 31, v[4:5]
	s_delay_alu instid0(VALU_DEP_1) | instskip(NEXT) | instid1(VALU_DEP_1)
	v_add_co_u32 v14, s0, s3, v14
	v_add_co_ci_u32_e64 v15, s0, s4, v15, s0
	global_load_u16 v5, v[6:7], off
	global_load_u16 v16, v[14:15], off
	v_add_co_u32 v6, s0, v6, s7
	s_delay_alu instid0(VALU_DEP_1) | instskip(SKIP_1) | instid1(VALU_DEP_1)
	v_add_co_ci_u32_e64 v7, s0, 0, v7, s0
	v_add_co_u32 v8, s0, v8, s12
	v_add_co_ci_u32_e64 v9, s0, 0, v9, s0
	s_waitcnt vmcnt(1)
	v_lshlrev_b32_e32 v5, 16, v5
	s_waitcnt vmcnt(0)
	v_lshlrev_b32_e32 v16, 16, v16
	s_delay_alu instid0(VALU_DEP_1) | instskip(NEXT) | instid1(VALU_DEP_1)
	v_add_f32_e32 v5, v5, v16
	v_bfe_u32 v16, v5, 16, 1
	v_cmp_o_f32_e64 s2, v5, v5
	s_delay_alu instid0(VALU_DEP_2) | instskip(NEXT) | instid1(VALU_DEP_1)
	v_add3_u32 v16, v5, v16, 0x7fff
	v_lshrrev_b32_e32 v16, 16, v16
	s_delay_alu instid0(VALU_DEP_1)
	v_cndmask_b32_e64 v5, 0x7fc0, v16, s2
	global_store_b16 v[14:15], v5, off
	s_and_not1_b32 exec_lo, exec_lo, s14
	s_cbranch_execnz .LBB11_8
	s_branch .LBB11_5
.LBB11_9:
	s_nop 0
	s_sendmsg sendmsg(MSG_DEALLOC_VGPRS)
	s_endpgm
.LBB11_10:
                                        ; implicit-def: $sgpr16_sgpr17
	s_load_b32 s7, s[0:1], 0x44
	s_branch .LBB11_2
	.section	.rodata,"a",@progbits
	.p2align	6, 0x0
	.amdhsa_kernel _ZN2at6native12_GLOBAL__N_120adaptivemaxgradinputIN3c108BFloat16EEEvPT_PKS5_PKliiiiiil
		.amdhsa_group_segment_fixed_size 0
		.amdhsa_private_segment_fixed_size 0
		.amdhsa_kernarg_size 312
		.amdhsa_user_sgpr_count 14
		.amdhsa_user_sgpr_dispatch_ptr 0
		.amdhsa_user_sgpr_queue_ptr 0
		.amdhsa_user_sgpr_kernarg_segment_ptr 1
		.amdhsa_user_sgpr_dispatch_id 0
		.amdhsa_user_sgpr_private_segment_size 0
		.amdhsa_wavefront_size32 1
		.amdhsa_uses_dynamic_stack 0
		.amdhsa_enable_private_segment 0
		.amdhsa_system_sgpr_workgroup_id_x 1
		.amdhsa_system_sgpr_workgroup_id_y 1
		.amdhsa_system_sgpr_workgroup_id_z 0
		.amdhsa_system_sgpr_workgroup_info 0
		.amdhsa_system_vgpr_workitem_id 1
		.amdhsa_next_free_vgpr 17
		.amdhsa_next_free_sgpr 28
		.amdhsa_reserve_vcc 1
		.amdhsa_float_round_mode_32 0
		.amdhsa_float_round_mode_16_64 0
		.amdhsa_float_denorm_mode_32 3
		.amdhsa_float_denorm_mode_16_64 3
		.amdhsa_dx10_clamp 1
		.amdhsa_ieee_mode 1
		.amdhsa_fp16_overflow 0
		.amdhsa_workgroup_processor_mode 1
		.amdhsa_memory_ordered 1
		.amdhsa_forward_progress 0
		.amdhsa_shared_vgpr_count 0
		.amdhsa_exception_fp_ieee_invalid_op 0
		.amdhsa_exception_fp_denorm_src 0
		.amdhsa_exception_fp_ieee_div_zero 0
		.amdhsa_exception_fp_ieee_overflow 0
		.amdhsa_exception_fp_ieee_underflow 0
		.amdhsa_exception_fp_ieee_inexact 0
		.amdhsa_exception_int_div_zero 0
	.end_amdhsa_kernel
	.section	.text._ZN2at6native12_GLOBAL__N_120adaptivemaxgradinputIN3c108BFloat16EEEvPT_PKS5_PKliiiiiil,"axG",@progbits,_ZN2at6native12_GLOBAL__N_120adaptivemaxgradinputIN3c108BFloat16EEEvPT_PKS5_PKliiiiiil,comdat
.Lfunc_end11:
	.size	_ZN2at6native12_GLOBAL__N_120adaptivemaxgradinputIN3c108BFloat16EEEvPT_PKS5_PKliiiiiil, .Lfunc_end11-_ZN2at6native12_GLOBAL__N_120adaptivemaxgradinputIN3c108BFloat16EEEvPT_PKS5_PKliiiiiil
                                        ; -- End function
	.section	.AMDGPU.csdata,"",@progbits
; Kernel info:
; codeLenInByte = 1428
; NumSgprs: 30
; NumVgprs: 17
; ScratchSize: 0
; MemoryBound: 0
; FloatMode: 240
; IeeeMode: 1
; LDSByteSize: 0 bytes/workgroup (compile time only)
; SGPRBlocks: 3
; VGPRBlocks: 2
; NumSGPRsForWavesPerEU: 30
; NumVGPRsForWavesPerEU: 17
; Occupancy: 16
; WaveLimiterHint : 1
; COMPUTE_PGM_RSRC2:SCRATCH_EN: 0
; COMPUTE_PGM_RSRC2:USER_SGPR: 14
; COMPUTE_PGM_RSRC2:TRAP_HANDLER: 0
; COMPUTE_PGM_RSRC2:TGID_X_EN: 1
; COMPUTE_PGM_RSRC2:TGID_Y_EN: 1
; COMPUTE_PGM_RSRC2:TGID_Z_EN: 0
; COMPUTE_PGM_RSRC2:TIDIG_COMP_CNT: 1
	.text
	.p2alignl 7, 3214868480
	.fill 96, 4, 3214868480
	.type	__hip_cuid_7253ccdebe227a1a,@object ; @__hip_cuid_7253ccdebe227a1a
	.section	.bss,"aw",@nobits
	.globl	__hip_cuid_7253ccdebe227a1a
__hip_cuid_7253ccdebe227a1a:
	.byte	0                               ; 0x0
	.size	__hip_cuid_7253ccdebe227a1a, 1

	.ident	"AMD clang version 19.0.0git (https://github.com/RadeonOpenCompute/llvm-project roc-6.4.0 25133 c7fe45cf4b819c5991fe208aaa96edf142730f1d)"
	.section	".note.GNU-stack","",@progbits
	.addrsig
	.addrsig_sym __hip_cuid_7253ccdebe227a1a
	.amdgpu_metadata
---
amdhsa.kernels:
  - .args:
      - .address_space:  global
        .offset:         0
        .size:           8
        .value_kind:     global_buffer
      - .address_space:  global
        .offset:         8
        .size:           8
        .value_kind:     global_buffer
      - .address_space:  global
        .offset:         16
        .size:           8
        .value_kind:     global_buffer
      - .offset:         24
        .size:           4
        .value_kind:     by_value
      - .offset:         28
        .size:           4
        .value_kind:     by_value
      - .offset:         32
        .size:           4
        .value_kind:     by_value
      - .offset:         36
        .size:           4
        .value_kind:     by_value
      - .offset:         40
        .size:           4
        .value_kind:     by_value
      - .offset:         44
        .size:           4
        .value_kind:     by_value
      - .offset:         48
        .size:           8
        .value_kind:     by_value
      - .offset:         56
        .size:           8
        .value_kind:     by_value
      - .offset:         64
        .size:           8
        .value_kind:     by_value
      - .offset:         72
        .size:           8
        .value_kind:     by_value
      - .offset:         80
        .size:           8
        .value_kind:     by_value
      - .offset:         88
        .size:           4
        .value_kind:     hidden_block_count_x
      - .offset:         92
        .size:           4
        .value_kind:     hidden_block_count_y
      - .offset:         96
        .size:           4
        .value_kind:     hidden_block_count_z
      - .offset:         100
        .size:           2
        .value_kind:     hidden_group_size_x
      - .offset:         102
        .size:           2
        .value_kind:     hidden_group_size_y
      - .offset:         104
        .size:           2
        .value_kind:     hidden_group_size_z
      - .offset:         106
        .size:           2
        .value_kind:     hidden_remainder_x
      - .offset:         108
        .size:           2
        .value_kind:     hidden_remainder_y
      - .offset:         110
        .size:           2
        .value_kind:     hidden_remainder_z
      - .offset:         128
        .size:           8
        .value_kind:     hidden_global_offset_x
      - .offset:         136
        .size:           8
        .value_kind:     hidden_global_offset_y
      - .offset:         144
        .size:           8
        .value_kind:     hidden_global_offset_z
      - .offset:         152
        .size:           2
        .value_kind:     hidden_grid_dims
    .group_segment_fixed_size: 0
    .kernarg_segment_align: 8
    .kernarg_segment_size: 344
    .language:       OpenCL C
    .language_version:
      - 2
      - 0
    .max_flat_workgroup_size: 1024
    .name:           _ZN2at6native12_GLOBAL__N_115adaptivemaxpoolIdEEvPKT_PS3_Pliiiiiilllll
    .private_segment_fixed_size: 0
    .sgpr_count:     49
    .sgpr_spill_count: 0
    .symbol:         _ZN2at6native12_GLOBAL__N_115adaptivemaxpoolIdEEvPKT_PS3_Pliiiiiilllll.kd
    .uniform_work_group_size: 1
    .uses_dynamic_stack: false
    .vgpr_count:     33
    .vgpr_spill_count: 0
    .wavefront_size: 32
    .workgroup_processor_mode: 1
  - .args:
      - .address_space:  global
        .offset:         0
        .size:           8
        .value_kind:     global_buffer
      - .address_space:  global
        .offset:         8
        .size:           8
        .value_kind:     global_buffer
      - .address_space:  global
        .offset:         16
        .size:           8
        .value_kind:     global_buffer
      - .offset:         24
        .size:           4
        .value_kind:     by_value
      - .offset:         28
        .size:           4
        .value_kind:     by_value
      - .offset:         32
        .size:           4
        .value_kind:     by_value
      - .offset:         36
        .size:           4
        .value_kind:     by_value
      - .offset:         40
        .size:           4
        .value_kind:     by_value
      - .offset:         44
        .size:           4
        .value_kind:     by_value
      - .offset:         48
        .size:           8
        .value_kind:     by_value
      - .offset:         56
        .size:           8
        .value_kind:     by_value
      - .offset:         64
        .size:           8
        .value_kind:     by_value
      - .offset:         72
        .size:           8
        .value_kind:     by_value
      - .offset:         80
        .size:           8
        .value_kind:     by_value
      - .offset:         88
        .size:           4
        .value_kind:     hidden_block_count_x
      - .offset:         92
        .size:           4
        .value_kind:     hidden_block_count_y
      - .offset:         96
        .size:           4
        .value_kind:     hidden_block_count_z
      - .offset:         100
        .size:           2
        .value_kind:     hidden_group_size_x
      - .offset:         102
        .size:           2
        .value_kind:     hidden_group_size_y
      - .offset:         104
        .size:           2
        .value_kind:     hidden_group_size_z
      - .offset:         106
        .size:           2
        .value_kind:     hidden_remainder_x
      - .offset:         108
        .size:           2
        .value_kind:     hidden_remainder_y
      - .offset:         110
        .size:           2
        .value_kind:     hidden_remainder_z
      - .offset:         128
        .size:           8
        .value_kind:     hidden_global_offset_x
      - .offset:         136
        .size:           8
        .value_kind:     hidden_global_offset_y
      - .offset:         144
        .size:           8
        .value_kind:     hidden_global_offset_z
      - .offset:         152
        .size:           2
        .value_kind:     hidden_grid_dims
    .group_segment_fixed_size: 0
    .kernarg_segment_align: 8
    .kernarg_segment_size: 344
    .language:       OpenCL C
    .language_version:
      - 2
      - 0
    .max_flat_workgroup_size: 1024
    .name:           _ZN2at6native12_GLOBAL__N_115adaptivemaxpoolIfEEvPKT_PS3_Pliiiiiilllll
    .private_segment_fixed_size: 0
    .sgpr_count:     49
    .sgpr_spill_count: 0
    .symbol:         _ZN2at6native12_GLOBAL__N_115adaptivemaxpoolIfEEvPKT_PS3_Pliiiiiilllll.kd
    .uniform_work_group_size: 1
    .uses_dynamic_stack: false
    .vgpr_count:     31
    .vgpr_spill_count: 0
    .wavefront_size: 32
    .workgroup_processor_mode: 1
  - .args:
      - .address_space:  global
        .offset:         0
        .size:           8
        .value_kind:     global_buffer
      - .address_space:  global
        .offset:         8
        .size:           8
        .value_kind:     global_buffer
      - .address_space:  global
        .offset:         16
        .size:           8
        .value_kind:     global_buffer
      - .offset:         24
        .size:           4
        .value_kind:     by_value
      - .offset:         28
        .size:           4
        .value_kind:     by_value
      - .offset:         32
        .size:           4
        .value_kind:     by_value
      - .offset:         36
        .size:           4
        .value_kind:     by_value
      - .offset:         40
        .size:           4
        .value_kind:     by_value
      - .offset:         44
        .size:           4
        .value_kind:     by_value
      - .offset:         48
        .size:           8
        .value_kind:     by_value
      - .offset:         56
        .size:           8
        .value_kind:     by_value
      - .offset:         64
        .size:           8
        .value_kind:     by_value
      - .offset:         72
        .size:           8
        .value_kind:     by_value
      - .offset:         80
        .size:           8
        .value_kind:     by_value
      - .offset:         88
        .size:           4
        .value_kind:     hidden_block_count_x
      - .offset:         92
        .size:           4
        .value_kind:     hidden_block_count_y
      - .offset:         96
        .size:           4
        .value_kind:     hidden_block_count_z
      - .offset:         100
        .size:           2
        .value_kind:     hidden_group_size_x
      - .offset:         102
        .size:           2
        .value_kind:     hidden_group_size_y
      - .offset:         104
        .size:           2
        .value_kind:     hidden_group_size_z
      - .offset:         106
        .size:           2
        .value_kind:     hidden_remainder_x
      - .offset:         108
        .size:           2
        .value_kind:     hidden_remainder_y
      - .offset:         110
        .size:           2
        .value_kind:     hidden_remainder_z
      - .offset:         128
        .size:           8
        .value_kind:     hidden_global_offset_x
      - .offset:         136
        .size:           8
        .value_kind:     hidden_global_offset_y
      - .offset:         144
        .size:           8
        .value_kind:     hidden_global_offset_z
      - .offset:         152
        .size:           2
        .value_kind:     hidden_grid_dims
    .group_segment_fixed_size: 0
    .kernarg_segment_align: 8
    .kernarg_segment_size: 344
    .language:       OpenCL C
    .language_version:
      - 2
      - 0
    .max_flat_workgroup_size: 1024
    .name:           _ZN2at6native12_GLOBAL__N_115adaptivemaxpoolIN3c104HalfEEEvPKT_PS5_Pliiiiiilllll
    .private_segment_fixed_size: 0
    .sgpr_count:     49
    .sgpr_spill_count: 0
    .symbol:         _ZN2at6native12_GLOBAL__N_115adaptivemaxpoolIN3c104HalfEEEvPKT_PS5_Pliiiiiilllll.kd
    .uniform_work_group_size: 1
    .uses_dynamic_stack: false
    .vgpr_count:     31
    .vgpr_spill_count: 0
    .wavefront_size: 32
    .workgroup_processor_mode: 1
  - .args:
      - .address_space:  global
        .offset:         0
        .size:           8
        .value_kind:     global_buffer
      - .address_space:  global
        .offset:         8
        .size:           8
        .value_kind:     global_buffer
      - .address_space:  global
        .offset:         16
        .size:           8
        .value_kind:     global_buffer
      - .offset:         24
        .size:           4
        .value_kind:     by_value
      - .offset:         28
        .size:           4
        .value_kind:     by_value
      - .offset:         32
        .size:           4
        .value_kind:     by_value
      - .offset:         36
        .size:           4
        .value_kind:     by_value
      - .offset:         40
        .size:           4
        .value_kind:     by_value
      - .offset:         44
        .size:           4
        .value_kind:     by_value
      - .offset:         48
        .size:           8
        .value_kind:     by_value
      - .offset:         56
        .size:           8
        .value_kind:     by_value
      - .offset:         64
        .size:           8
        .value_kind:     by_value
      - .offset:         72
        .size:           8
        .value_kind:     by_value
      - .offset:         80
        .size:           8
        .value_kind:     by_value
      - .offset:         88
        .size:           4
        .value_kind:     hidden_block_count_x
      - .offset:         92
        .size:           4
        .value_kind:     hidden_block_count_y
      - .offset:         96
        .size:           4
        .value_kind:     hidden_block_count_z
      - .offset:         100
        .size:           2
        .value_kind:     hidden_group_size_x
      - .offset:         102
        .size:           2
        .value_kind:     hidden_group_size_y
      - .offset:         104
        .size:           2
        .value_kind:     hidden_group_size_z
      - .offset:         106
        .size:           2
        .value_kind:     hidden_remainder_x
      - .offset:         108
        .size:           2
        .value_kind:     hidden_remainder_y
      - .offset:         110
        .size:           2
        .value_kind:     hidden_remainder_z
      - .offset:         128
        .size:           8
        .value_kind:     hidden_global_offset_x
      - .offset:         136
        .size:           8
        .value_kind:     hidden_global_offset_y
      - .offset:         144
        .size:           8
        .value_kind:     hidden_global_offset_z
      - .offset:         152
        .size:           2
        .value_kind:     hidden_grid_dims
    .group_segment_fixed_size: 0
    .kernarg_segment_align: 8
    .kernarg_segment_size: 344
    .language:       OpenCL C
    .language_version:
      - 2
      - 0
    .max_flat_workgroup_size: 1024
    .name:           _ZN2at6native12_GLOBAL__N_115adaptivemaxpoolIN3c108BFloat16EEEvPKT_PS5_Pliiiiiilllll
    .private_segment_fixed_size: 0
    .sgpr_count:     49
    .sgpr_spill_count: 0
    .symbol:         _ZN2at6native12_GLOBAL__N_115adaptivemaxpoolIN3c108BFloat16EEEvPKT_PS5_Pliiiiiilllll.kd
    .uniform_work_group_size: 1
    .uses_dynamic_stack: false
    .vgpr_count:     32
    .vgpr_spill_count: 0
    .wavefront_size: 32
    .workgroup_processor_mode: 1
  - .args:
      - .address_space:  global
        .offset:         0
        .size:           8
        .value_kind:     global_buffer
      - .address_space:  global
        .offset:         8
        .size:           8
        .value_kind:     global_buffer
      - .address_space:  global
        .offset:         16
        .size:           8
        .value_kind:     global_buffer
      - .offset:         24
        .size:           4
        .value_kind:     by_value
      - .offset:         28
        .size:           4
        .value_kind:     by_value
      - .offset:         32
        .size:           4
        .value_kind:     by_value
      - .offset:         36
        .size:           4
        .value_kind:     by_value
      - .offset:         40
        .size:           4
        .value_kind:     by_value
      - .offset:         44
        .size:           4
        .value_kind:     by_value
      - .offset:         48
        .size:           8
        .value_kind:     by_value
      - .offset:         56
        .size:           4
        .value_kind:     hidden_block_count_x
      - .offset:         60
        .size:           4
        .value_kind:     hidden_block_count_y
      - .offset:         64
        .size:           4
        .value_kind:     hidden_block_count_z
      - .offset:         68
        .size:           2
        .value_kind:     hidden_group_size_x
      - .offset:         70
        .size:           2
        .value_kind:     hidden_group_size_y
      - .offset:         72
        .size:           2
        .value_kind:     hidden_group_size_z
      - .offset:         74
        .size:           2
        .value_kind:     hidden_remainder_x
      - .offset:         76
        .size:           2
        .value_kind:     hidden_remainder_y
      - .offset:         78
        .size:           2
        .value_kind:     hidden_remainder_z
      - .offset:         96
        .size:           8
        .value_kind:     hidden_global_offset_x
      - .offset:         104
        .size:           8
        .value_kind:     hidden_global_offset_y
      - .offset:         112
        .size:           8
        .value_kind:     hidden_global_offset_z
      - .offset:         120
        .size:           2
        .value_kind:     hidden_grid_dims
    .group_segment_fixed_size: 0
    .kernarg_segment_align: 8
    .kernarg_segment_size: 312
    .language:       OpenCL C
    .language_version:
      - 2
      - 0
    .max_flat_workgroup_size: 1024
    .name:           _ZN2at6native12_GLOBAL__N_126atomicadaptivemaxgradinputIdEEvPT_PKS3_PKliiiiiil
    .private_segment_fixed_size: 0
    .sgpr_count:     30
    .sgpr_spill_count: 0
    .symbol:         _ZN2at6native12_GLOBAL__N_126atomicadaptivemaxgradinputIdEEvPT_PKS3_PKliiiiiil.kd
    .uniform_work_group_size: 1
    .uses_dynamic_stack: false
    .vgpr_count:     16
    .vgpr_spill_count: 0
    .wavefront_size: 32
    .workgroup_processor_mode: 1
  - .args:
      - .address_space:  global
        .offset:         0
        .size:           8
        .value_kind:     global_buffer
      - .address_space:  global
        .offset:         8
        .size:           8
        .value_kind:     global_buffer
      - .address_space:  global
        .offset:         16
        .size:           8
        .value_kind:     global_buffer
      - .offset:         24
        .size:           4
        .value_kind:     by_value
      - .offset:         28
        .size:           4
        .value_kind:     by_value
      - .offset:         32
        .size:           4
        .value_kind:     by_value
      - .offset:         36
        .size:           4
        .value_kind:     by_value
      - .offset:         40
        .size:           4
        .value_kind:     by_value
      - .offset:         44
        .size:           4
        .value_kind:     by_value
      - .offset:         48
        .size:           8
        .value_kind:     by_value
      - .offset:         56
        .size:           4
        .value_kind:     hidden_block_count_x
      - .offset:         60
        .size:           4
        .value_kind:     hidden_block_count_y
      - .offset:         64
        .size:           4
        .value_kind:     hidden_block_count_z
      - .offset:         68
        .size:           2
        .value_kind:     hidden_group_size_x
      - .offset:         70
        .size:           2
        .value_kind:     hidden_group_size_y
      - .offset:         72
        .size:           2
        .value_kind:     hidden_group_size_z
      - .offset:         74
        .size:           2
        .value_kind:     hidden_remainder_x
      - .offset:         76
        .size:           2
        .value_kind:     hidden_remainder_y
      - .offset:         78
        .size:           2
        .value_kind:     hidden_remainder_z
      - .offset:         96
        .size:           8
        .value_kind:     hidden_global_offset_x
      - .offset:         104
        .size:           8
        .value_kind:     hidden_global_offset_y
      - .offset:         112
        .size:           8
        .value_kind:     hidden_global_offset_z
      - .offset:         120
        .size:           2
        .value_kind:     hidden_grid_dims
    .group_segment_fixed_size: 0
    .kernarg_segment_align: 8
    .kernarg_segment_size: 312
    .language:       OpenCL C
    .language_version:
      - 2
      - 0
    .max_flat_workgroup_size: 1024
    .name:           _ZN2at6native12_GLOBAL__N_126atomicadaptivemaxgradinputIfEEvPT_PKS3_PKliiiiiil
    .private_segment_fixed_size: 0
    .sgpr_count:     30
    .sgpr_spill_count: 0
    .symbol:         _ZN2at6native12_GLOBAL__N_126atomicadaptivemaxgradinputIfEEvPT_PKS3_PKliiiiiil.kd
    .uniform_work_group_size: 1
    .uses_dynamic_stack: false
    .vgpr_count:     13
    .vgpr_spill_count: 0
    .wavefront_size: 32
    .workgroup_processor_mode: 1
  - .args:
      - .address_space:  global
        .offset:         0
        .size:           8
        .value_kind:     global_buffer
      - .address_space:  global
        .offset:         8
        .size:           8
        .value_kind:     global_buffer
      - .address_space:  global
        .offset:         16
        .size:           8
        .value_kind:     global_buffer
      - .offset:         24
        .size:           4
        .value_kind:     by_value
      - .offset:         28
        .size:           4
        .value_kind:     by_value
      - .offset:         32
        .size:           4
        .value_kind:     by_value
      - .offset:         36
        .size:           4
        .value_kind:     by_value
      - .offset:         40
        .size:           4
        .value_kind:     by_value
      - .offset:         44
        .size:           4
        .value_kind:     by_value
      - .offset:         48
        .size:           8
        .value_kind:     by_value
      - .offset:         56
        .size:           4
        .value_kind:     hidden_block_count_x
      - .offset:         60
        .size:           4
        .value_kind:     hidden_block_count_y
      - .offset:         64
        .size:           4
        .value_kind:     hidden_block_count_z
      - .offset:         68
        .size:           2
        .value_kind:     hidden_group_size_x
      - .offset:         70
        .size:           2
        .value_kind:     hidden_group_size_y
      - .offset:         72
        .size:           2
        .value_kind:     hidden_group_size_z
      - .offset:         74
        .size:           2
        .value_kind:     hidden_remainder_x
      - .offset:         76
        .size:           2
        .value_kind:     hidden_remainder_y
      - .offset:         78
        .size:           2
        .value_kind:     hidden_remainder_z
      - .offset:         96
        .size:           8
        .value_kind:     hidden_global_offset_x
      - .offset:         104
        .size:           8
        .value_kind:     hidden_global_offset_y
      - .offset:         112
        .size:           8
        .value_kind:     hidden_global_offset_z
      - .offset:         120
        .size:           2
        .value_kind:     hidden_grid_dims
    .group_segment_fixed_size: 0
    .kernarg_segment_align: 8
    .kernarg_segment_size: 312
    .language:       OpenCL C
    .language_version:
      - 2
      - 0
    .max_flat_workgroup_size: 1024
    .name:           _ZN2at6native12_GLOBAL__N_126atomicadaptivemaxgradinputIN3c104HalfEEEvPT_PKS5_PKliiiiiil
    .private_segment_fixed_size: 0
    .sgpr_count:     30
    .sgpr_spill_count: 0
    .symbol:         _ZN2at6native12_GLOBAL__N_126atomicadaptivemaxgradinputIN3c104HalfEEEvPT_PKS5_PKliiiiiil.kd
    .uniform_work_group_size: 1
    .uses_dynamic_stack: false
    .vgpr_count:     15
    .vgpr_spill_count: 0
    .wavefront_size: 32
    .workgroup_processor_mode: 1
  - .args:
      - .address_space:  global
        .offset:         0
        .size:           8
        .value_kind:     global_buffer
      - .address_space:  global
        .offset:         8
        .size:           8
        .value_kind:     global_buffer
      - .address_space:  global
        .offset:         16
        .size:           8
        .value_kind:     global_buffer
      - .offset:         24
        .size:           4
        .value_kind:     by_value
      - .offset:         28
        .size:           4
        .value_kind:     by_value
      - .offset:         32
        .size:           4
        .value_kind:     by_value
      - .offset:         36
        .size:           4
        .value_kind:     by_value
      - .offset:         40
        .size:           4
        .value_kind:     by_value
      - .offset:         44
        .size:           4
        .value_kind:     by_value
      - .offset:         48
        .size:           8
        .value_kind:     by_value
      - .offset:         56
        .size:           4
        .value_kind:     hidden_block_count_x
      - .offset:         60
        .size:           4
        .value_kind:     hidden_block_count_y
      - .offset:         64
        .size:           4
        .value_kind:     hidden_block_count_z
      - .offset:         68
        .size:           2
        .value_kind:     hidden_group_size_x
      - .offset:         70
        .size:           2
        .value_kind:     hidden_group_size_y
      - .offset:         72
        .size:           2
        .value_kind:     hidden_group_size_z
      - .offset:         74
        .size:           2
        .value_kind:     hidden_remainder_x
      - .offset:         76
        .size:           2
        .value_kind:     hidden_remainder_y
      - .offset:         78
        .size:           2
        .value_kind:     hidden_remainder_z
      - .offset:         96
        .size:           8
        .value_kind:     hidden_global_offset_x
      - .offset:         104
        .size:           8
        .value_kind:     hidden_global_offset_y
      - .offset:         112
        .size:           8
        .value_kind:     hidden_global_offset_z
      - .offset:         120
        .size:           2
        .value_kind:     hidden_grid_dims
    .group_segment_fixed_size: 0
    .kernarg_segment_align: 8
    .kernarg_segment_size: 312
    .language:       OpenCL C
    .language_version:
      - 2
      - 0
    .max_flat_workgroup_size: 1024
    .name:           _ZN2at6native12_GLOBAL__N_126atomicadaptivemaxgradinputIN3c108BFloat16EEEvPT_PKS5_PKliiiiiil
    .private_segment_fixed_size: 0
    .sgpr_count:     30
    .sgpr_spill_count: 0
    .symbol:         _ZN2at6native12_GLOBAL__N_126atomicadaptivemaxgradinputIN3c108BFloat16EEEvPT_PKS5_PKliiiiiil.kd
    .uniform_work_group_size: 1
    .uses_dynamic_stack: false
    .vgpr_count:     14
    .vgpr_spill_count: 0
    .wavefront_size: 32
    .workgroup_processor_mode: 1
  - .args:
      - .address_space:  global
        .offset:         0
        .size:           8
        .value_kind:     global_buffer
      - .address_space:  global
        .offset:         8
        .size:           8
        .value_kind:     global_buffer
      - .address_space:  global
        .offset:         16
        .size:           8
        .value_kind:     global_buffer
      - .offset:         24
        .size:           4
        .value_kind:     by_value
      - .offset:         28
        .size:           4
        .value_kind:     by_value
      - .offset:         32
        .size:           4
        .value_kind:     by_value
      - .offset:         36
        .size:           4
        .value_kind:     by_value
      - .offset:         40
        .size:           4
        .value_kind:     by_value
      - .offset:         44
        .size:           4
        .value_kind:     by_value
      - .offset:         48
        .size:           8
        .value_kind:     by_value
      - .offset:         56
        .size:           4
        .value_kind:     hidden_block_count_x
      - .offset:         60
        .size:           4
        .value_kind:     hidden_block_count_y
      - .offset:         64
        .size:           4
        .value_kind:     hidden_block_count_z
      - .offset:         68
        .size:           2
        .value_kind:     hidden_group_size_x
      - .offset:         70
        .size:           2
        .value_kind:     hidden_group_size_y
      - .offset:         72
        .size:           2
        .value_kind:     hidden_group_size_z
      - .offset:         74
        .size:           2
        .value_kind:     hidden_remainder_x
      - .offset:         76
        .size:           2
        .value_kind:     hidden_remainder_y
      - .offset:         78
        .size:           2
        .value_kind:     hidden_remainder_z
      - .offset:         96
        .size:           8
        .value_kind:     hidden_global_offset_x
      - .offset:         104
        .size:           8
        .value_kind:     hidden_global_offset_y
      - .offset:         112
        .size:           8
        .value_kind:     hidden_global_offset_z
      - .offset:         120
        .size:           2
        .value_kind:     hidden_grid_dims
    .group_segment_fixed_size: 0
    .kernarg_segment_align: 8
    .kernarg_segment_size: 312
    .language:       OpenCL C
    .language_version:
      - 2
      - 0
    .max_flat_workgroup_size: 1024
    .name:           _ZN2at6native12_GLOBAL__N_120adaptivemaxgradinputIdEEvPT_PKS3_PKliiiiiil
    .private_segment_fixed_size: 0
    .sgpr_count:     30
    .sgpr_spill_count: 0
    .symbol:         _ZN2at6native12_GLOBAL__N_120adaptivemaxgradinputIdEEvPT_PKS3_PKliiiiiil.kd
    .uniform_work_group_size: 1
    .uses_dynamic_stack: false
    .vgpr_count:     16
    .vgpr_spill_count: 0
    .wavefront_size: 32
    .workgroup_processor_mode: 1
  - .args:
      - .address_space:  global
        .offset:         0
        .size:           8
        .value_kind:     global_buffer
      - .address_space:  global
        .offset:         8
        .size:           8
        .value_kind:     global_buffer
      - .address_space:  global
        .offset:         16
        .size:           8
        .value_kind:     global_buffer
      - .offset:         24
        .size:           4
        .value_kind:     by_value
      - .offset:         28
        .size:           4
        .value_kind:     by_value
      - .offset:         32
        .size:           4
        .value_kind:     by_value
      - .offset:         36
        .size:           4
        .value_kind:     by_value
      - .offset:         40
        .size:           4
        .value_kind:     by_value
      - .offset:         44
        .size:           4
        .value_kind:     by_value
      - .offset:         48
        .size:           8
        .value_kind:     by_value
      - .offset:         56
        .size:           4
        .value_kind:     hidden_block_count_x
      - .offset:         60
        .size:           4
        .value_kind:     hidden_block_count_y
      - .offset:         64
        .size:           4
        .value_kind:     hidden_block_count_z
      - .offset:         68
        .size:           2
        .value_kind:     hidden_group_size_x
      - .offset:         70
        .size:           2
        .value_kind:     hidden_group_size_y
      - .offset:         72
        .size:           2
        .value_kind:     hidden_group_size_z
      - .offset:         74
        .size:           2
        .value_kind:     hidden_remainder_x
      - .offset:         76
        .size:           2
        .value_kind:     hidden_remainder_y
      - .offset:         78
        .size:           2
        .value_kind:     hidden_remainder_z
      - .offset:         96
        .size:           8
        .value_kind:     hidden_global_offset_x
      - .offset:         104
        .size:           8
        .value_kind:     hidden_global_offset_y
      - .offset:         112
        .size:           8
        .value_kind:     hidden_global_offset_z
      - .offset:         120
        .size:           2
        .value_kind:     hidden_grid_dims
    .group_segment_fixed_size: 0
    .kernarg_segment_align: 8
    .kernarg_segment_size: 312
    .language:       OpenCL C
    .language_version:
      - 2
      - 0
    .max_flat_workgroup_size: 1024
    .name:           _ZN2at6native12_GLOBAL__N_120adaptivemaxgradinputIfEEvPT_PKS3_PKliiiiiil
    .private_segment_fixed_size: 0
    .sgpr_count:     30
    .sgpr_spill_count: 0
    .symbol:         _ZN2at6native12_GLOBAL__N_120adaptivemaxgradinputIfEEvPT_PKS3_PKliiiiiil.kd
    .uniform_work_group_size: 1
    .uses_dynamic_stack: false
    .vgpr_count:     17
    .vgpr_spill_count: 0
    .wavefront_size: 32
    .workgroup_processor_mode: 1
  - .args:
      - .address_space:  global
        .offset:         0
        .size:           8
        .value_kind:     global_buffer
      - .address_space:  global
        .offset:         8
        .size:           8
        .value_kind:     global_buffer
      - .address_space:  global
        .offset:         16
        .size:           8
        .value_kind:     global_buffer
      - .offset:         24
        .size:           4
        .value_kind:     by_value
      - .offset:         28
        .size:           4
        .value_kind:     by_value
      - .offset:         32
        .size:           4
        .value_kind:     by_value
      - .offset:         36
        .size:           4
        .value_kind:     by_value
      - .offset:         40
        .size:           4
        .value_kind:     by_value
      - .offset:         44
        .size:           4
        .value_kind:     by_value
      - .offset:         48
        .size:           8
        .value_kind:     by_value
      - .offset:         56
        .size:           4
        .value_kind:     hidden_block_count_x
      - .offset:         60
        .size:           4
        .value_kind:     hidden_block_count_y
      - .offset:         64
        .size:           4
        .value_kind:     hidden_block_count_z
      - .offset:         68
        .size:           2
        .value_kind:     hidden_group_size_x
      - .offset:         70
        .size:           2
        .value_kind:     hidden_group_size_y
      - .offset:         72
        .size:           2
        .value_kind:     hidden_group_size_z
      - .offset:         74
        .size:           2
        .value_kind:     hidden_remainder_x
      - .offset:         76
        .size:           2
        .value_kind:     hidden_remainder_y
      - .offset:         78
        .size:           2
        .value_kind:     hidden_remainder_z
      - .offset:         96
        .size:           8
        .value_kind:     hidden_global_offset_x
      - .offset:         104
        .size:           8
        .value_kind:     hidden_global_offset_y
      - .offset:         112
        .size:           8
        .value_kind:     hidden_global_offset_z
      - .offset:         120
        .size:           2
        .value_kind:     hidden_grid_dims
    .group_segment_fixed_size: 0
    .kernarg_segment_align: 8
    .kernarg_segment_size: 312
    .language:       OpenCL C
    .language_version:
      - 2
      - 0
    .max_flat_workgroup_size: 1024
    .name:           _ZN2at6native12_GLOBAL__N_120adaptivemaxgradinputIN3c104HalfEEEvPT_PKS5_PKliiiiiil
    .private_segment_fixed_size: 0
    .sgpr_count:     30
    .sgpr_spill_count: 0
    .symbol:         _ZN2at6native12_GLOBAL__N_120adaptivemaxgradinputIN3c104HalfEEEvPT_PKS5_PKliiiiiil.kd
    .uniform_work_group_size: 1
    .uses_dynamic_stack: false
    .vgpr_count:     17
    .vgpr_spill_count: 0
    .wavefront_size: 32
    .workgroup_processor_mode: 1
  - .args:
      - .address_space:  global
        .offset:         0
        .size:           8
        .value_kind:     global_buffer
      - .address_space:  global
        .offset:         8
        .size:           8
        .value_kind:     global_buffer
      - .address_space:  global
        .offset:         16
        .size:           8
        .value_kind:     global_buffer
      - .offset:         24
        .size:           4
        .value_kind:     by_value
      - .offset:         28
        .size:           4
        .value_kind:     by_value
      - .offset:         32
        .size:           4
        .value_kind:     by_value
      - .offset:         36
        .size:           4
        .value_kind:     by_value
      - .offset:         40
        .size:           4
        .value_kind:     by_value
      - .offset:         44
        .size:           4
        .value_kind:     by_value
      - .offset:         48
        .size:           8
        .value_kind:     by_value
      - .offset:         56
        .size:           4
        .value_kind:     hidden_block_count_x
      - .offset:         60
        .size:           4
        .value_kind:     hidden_block_count_y
      - .offset:         64
        .size:           4
        .value_kind:     hidden_block_count_z
      - .offset:         68
        .size:           2
        .value_kind:     hidden_group_size_x
      - .offset:         70
        .size:           2
        .value_kind:     hidden_group_size_y
      - .offset:         72
        .size:           2
        .value_kind:     hidden_group_size_z
      - .offset:         74
        .size:           2
        .value_kind:     hidden_remainder_x
      - .offset:         76
        .size:           2
        .value_kind:     hidden_remainder_y
      - .offset:         78
        .size:           2
        .value_kind:     hidden_remainder_z
      - .offset:         96
        .size:           8
        .value_kind:     hidden_global_offset_x
      - .offset:         104
        .size:           8
        .value_kind:     hidden_global_offset_y
      - .offset:         112
        .size:           8
        .value_kind:     hidden_global_offset_z
      - .offset:         120
        .size:           2
        .value_kind:     hidden_grid_dims
    .group_segment_fixed_size: 0
    .kernarg_segment_align: 8
    .kernarg_segment_size: 312
    .language:       OpenCL C
    .language_version:
      - 2
      - 0
    .max_flat_workgroup_size: 1024
    .name:           _ZN2at6native12_GLOBAL__N_120adaptivemaxgradinputIN3c108BFloat16EEEvPT_PKS5_PKliiiiiil
    .private_segment_fixed_size: 0
    .sgpr_count:     30
    .sgpr_spill_count: 0
    .symbol:         _ZN2at6native12_GLOBAL__N_120adaptivemaxgradinputIN3c108BFloat16EEEvPT_PKS5_PKliiiiiil.kd
    .uniform_work_group_size: 1
    .uses_dynamic_stack: false
    .vgpr_count:     17
    .vgpr_spill_count: 0
    .wavefront_size: 32
    .workgroup_processor_mode: 1
amdhsa.target:   amdgcn-amd-amdhsa--gfx1100
amdhsa.version:
  - 1
  - 2
...

	.end_amdgpu_metadata
